;; amdgpu-corpus repo=ROCm/Tensile kind=harvested arch=n/a opt=n/a

/******************************************/
/* Function Prefix                        */
/******************************************/



/******************************************/
/* Begin Kernel                           */
/******************************************/

// Component.Signature.SignatureDefault
.amdgcn_target "amdgcn-amd-amdhsa--gfx942"
.text
.protected Cijk_Ailk_Bljk_BBS_BH_MT256x224x64_MI16x16x16x1_SN_1LDSB1_APM1_AF0EM8_AF1EM8_AMAS3_ASE_ASGT3256_ASLT_ASM_ASAE01_ASCE01_ASEM64_BL1_BS1_CLR0_DTVA0_DTVB0_ETSP_EPS1_ELFLR4_EMLL0_FSSC10_FL0_GLVWA8_GLVWB4_GRCGA1_GRPM1_GRVWn1_GSU1_GSUASB_GLS0_IU1_K1_LBSPPA0_LBSPPB128_LPA0_LPB4_LRVW4_LWPMn1_MIAV0_MKFGSU256_NTA0_NTB0_NTC3_NTD3_NEPBS0_NLCA2_NLCB1_ONLL1_PGR2_PLR5_PKA0_SIA3_SLW1_SS1_SU8_SUM0_SUS128_SPO1_SRVW0_SSO0_SVW4_TSGRA0_TSGRB0_TT4_224_TLDS1_UMLDSA0_UMLDSB1_USFGROn1_VAW1_VSn1_VW4_VWB1_VFLRP1_WSGRA0_WSGRB0_WG64_4_1_WGM1
.globl Cijk_Ailk_Bljk_BBS_BH_MT256x224x64_MI16x16x16x1_SN_1LDSB1_APM1_AF0EM8_AF1EM8_AMAS3_ASE_ASGT3256_ASLT_ASM_ASAE01_ASCE01_ASEM64_BL1_BS1_CLR0_DTVA0_DTVB0_ETSP_EPS1_ELFLR4_EMLL0_FSSC10_FL0_GLVWA8_GLVWB4_GRCGA1_GRPM1_GRVWn1_GSU1_GSUASB_GLS0_IU1_K1_LBSPPA0_LBSPPB128_LPA0_LPB4_LRVW4_LWPMn1_MIAV0_MKFGSU256_NTA0_NTB0_NTC3_NTD3_NEPBS0_NLCA2_NLCB1_ONLL1_PGR2_PLR5_PKA0_SIA3_SLW1_SS1_SU8_SUM0_SUS128_SPO1_SRVW0_SSO0_SVW4_TSGRA0_TSGRB0_TT4_224_TLDS1_UMLDSA0_UMLDSB1_USFGROn1_VAW1_VSn1_VW4_VWB1_VFLRP1_WSGRA0_WSGRB0_WG64_4_1_WGM1
.p2align 8
.type Cijk_Ailk_Bljk_BBS_BH_MT256x224x64_MI16x16x16x1_SN_1LDSB1_APM1_AF0EM8_AF1EM8_AMAS3_ASE_ASGT3256_ASLT_ASM_ASAE01_ASCE01_ASEM64_BL1_BS1_CLR0_DTVA0_DTVB0_ETSP_EPS1_ELFLR4_EMLL0_FSSC10_FL0_GLVWA8_GLVWB4_GRCGA1_GRPM1_GRVWn1_GSU1_GSUASB_GLS0_IU1_K1_LBSPPA0_LBSPPB128_LPA0_LPB4_LRVW4_LWPMn1_MIAV0_MKFGSU256_NTA0_NTB0_NTC3_NTD3_NEPBS0_NLCA2_NLCB1_ONLL1_PGR2_PLR5_PKA0_SIA3_SLW1_SS1_SU8_SUM0_SUS128_SPO1_SRVW0_SSO0_SVW4_TSGRA0_TSGRB0_TT4_224_TLDS1_UMLDSA0_UMLDSB1_USFGROn1_VAW1_VSn1_VW4_VWB1_VFLRP1_WSGRA0_WSGRB0_WG64_4_1_WGM1,@function
.section .rodata,#alloc
.p2align 6
.amdhsa_kernel Cijk_Ailk_Bljk_BBS_BH_MT256x224x64_MI16x16x16x1_SN_1LDSB1_APM1_AF0EM8_AF1EM8_AMAS3_ASE_ASGT3256_ASLT_ASM_ASAE01_ASCE01_ASEM64_BL1_BS1_CLR0_DTVA0_DTVB0_ETSP_EPS1_ELFLR4_EMLL0_FSSC10_FL0_GLVWA8_GLVWB4_GRCGA1_GRPM1_GRVWn1_GSU1_GSUASB_GLS0_IU1_K1_LBSPPA0_LBSPPB128_LPA0_LPB4_LRVW4_LWPMn1_MIAV0_MKFGSU256_NTA0_NTB0_NTC3_NTD3_NEPBS0_NLCA2_NLCB1_ONLL1_PGR2_PLR5_PKA0_SIA3_SLW1_SS1_SU8_SUM0_SUS128_SPO1_SRVW0_SSO0_SVW4_TSGRA0_TSGRB0_TT4_224_TLDS1_UMLDSA0_UMLDSB1_USFGROn1_VAW1_VSn1_VW4_VWB1_VFLRP1_WSGRA0_WSGRB0_WG64_4_1_WGM1
  .amdhsa_user_sgpr_kernarg_segment_ptr 1
  .amdhsa_user_sgpr_kernarg_preload_offset 0
  .amdhsa_user_sgpr_kernarg_preload_length 0
  .amdhsa_user_sgpr_count 2
  .amdhsa_accum_offset 256 // accvgpr offset
  .amdhsa_next_free_vgpr 480 // vgprs
  .amdhsa_next_free_sgpr 80 // sgprs
  .amdhsa_group_segment_fixed_size 63232 // lds bytes
  .amdhsa_private_segment_fixed_size 0
  .amdhsa_system_sgpr_workgroup_id_x 1
  .amdhsa_system_sgpr_workgroup_id_y 1
  .amdhsa_system_sgpr_workgroup_id_z 1
  .amdhsa_system_vgpr_workitem_id 0
  .amdhsa_float_denorm_mode_32 3
  .amdhsa_float_denorm_mode_16_64 3
.end_amdhsa_kernel
.text

/******************************************/
/* Optimizations and Config:              */
/******************************************/
/* ThreadTile= 16 x 14 */
/* SubGroup= 16 x 16 */
/* VectorWidthA=4 */
/* VectorWidthB=1 */
/* GlobalLoadVectorWidthA=8, GlobalLoadVectorWidthB=4 */
/* DirectToLdsA=False */
/* DirectToLdsB=False */
/* UseSgprForGRO=1 */
.amdgpu_metadata
---
amdhsa.version:
  - 1
  - 1
amdhsa.target: amdgcn-amd-amdhsa--gfx942
amdhsa.kernels:
  - .name: Cijk_Ailk_Bljk_BBS_BH_MT256x224x64_MI16x16x16x1_SN_1LDSB1_APM1_AF0EM8_AF1EM8_AMAS3_ASE_ASGT3256_ASLT_ASM_ASAE01_ASCE01_ASEM64_BL1_BS1_CLR0_DTVA0_DTVB0_ETSP_EPS1_ELFLR4_EMLL0_FSSC10_FL0_GLVWA8_GLVWB4_GRCGA1_GRPM1_GRVWn1_GSU1_GSUASB_GLS0_IU1_K1_LBSPPA0_LBSPPB128_LPA0_LPB4_LRVW4_LWPMn1_MIAV0_MKFGSU256_NTA0_NTB0_NTC3_NTD3_NEPBS0_NLCA2_NLCB1_ONLL1_PGR2_PLR5_PKA0_SIA3_SLW1_SS1_SU8_SUM0_SUS128_SPO1_SRVW0_SSO0_SVW4_TSGRA0_TSGRB0_TT4_224_TLDS1_UMLDSA0_UMLDSB1_USFGROn1_VAW1_VSn1_VW4_VWB1_VFLRP1_WSGRA0_WSGRB0_WG64_4_1_WGM1
    .symbol: 'Cijk_Ailk_Bljk_BBS_BH_MT256x224x64_MI16x16x16x1_SN_1LDSB1_APM1_AF0EM8_AF1EM8_AMAS3_ASE_ASGT3256_ASLT_ASM_ASAE01_ASCE01_ASEM64_BL1_BS1_CLR0_DTVA0_DTVB0_ETSP_EPS1_ELFLR4_EMLL0_FSSC10_FL0_GLVWA8_GLVWB4_GRCGA1_GRPM1_GRVWn1_GSU1_GSUASB_GLS0_IU1_K1_LBSPPA0_LBSPPB128_LPA0_LPB4_LRVW4_LWPMn1_MIAV0_MKFGSU256_NTA0_NTB0_NTC3_NTD3_NEPBS0_NLCA2_NLCB1_ONLL1_PGR2_PLR5_PKA0_SIA3_SLW1_SS1_SU8_SUM0_SUS128_SPO1_SRVW0_SSO0_SVW4_TSGRA0_TSGRB0_TT4_224_TLDS1_UMLDSA0_UMLDSB1_USFGROn1_VAW1_VSn1_VW4_VWB1_VFLRP1_WSGRA0_WSGRB0_WG64_4_1_WGM1.kd'
    .language:                   OpenCL C
    .language_version:
      - 2
      - 0
    .args:
      - .name:            Tensor2dSizeA
        .size:            8
        .offset:          0
        .value_kind:      by_value
        .value_type:      u64
      - .name:            Tensor2dSizeB
        .size:            8
        .offset:          8
        .value_kind:      by_value
        .value_type:      u64
      - .name:            AddressD
        .size:            8
        .offset:          16
        .value_kind:      by_value
        .value_type:      u64
      - .name:            AddressC
        .size:            8
        .offset:          24
        .value_kind:      by_value
        .value_type:      u64
      - .name:            AddressA
        .size:            8
        .offset:          32
        .value_kind:      by_value
        .value_type:      u64
      - .name:            AddressB
        .size:            8
        .offset:          40
        .value_kind:      by_value
        .value_type:      u64
      - .name:            Alpha
        .size:            4
        .offset:          48
        .value_kind:      by_value
        .value_type:      u32
      - .name:            Beta
        .size:            4
        .offset:          52
        .value_kind:      by_value
        .value_type:      u32
      - .name:            StridesD
        .size:            8
        .offset:          56
        .value_kind:      by_value
        .value_type:      u64
      - .name:            StridesC
        .size:            8
        .offset:          64
        .value_kind:      by_value
        .value_type:      u64
      - .name:            StridesA
        .size:            8
        .offset:          72
        .value_kind:      by_value
        .value_type:      u64
      - .name:            StridesB
        .size:            8
        .offset:          80
        .value_kind:      by_value
        .value_type:      u64
      - .name:            SizesFree
        .size:            12
        .offset:          88
        .value_kind:      by_value
        .value_type:      u96
      - .name:            SizesSum
        .size:            4
        .offset:          100
        .value_kind:      by_value
        .value_type:      u32
      - .name:            OrigStaggerUIter
        .size:            4
        .offset:          104
        .value_kind:      by_value
        .value_type:      u32
      - .name:            NumWorkGroups0
        .size:            4
        .offset:          108
        .value_kind:      by_value
        .value_type:      u32
      - .name:            NumWorkGroups1
        .size:            4
        .offset:          112
        .value_kind:      by_value
        .value_type:      u32
    .group_segment_fixed_size:   63232
    .kernarg_segment_align:      8
    .kernarg_segment_size:       120
    .max_flat_workgroup_size:    256
    .private_segment_fixed_size: 0
    .sgpr_count:                 80
    .sgpr_spill_count:           0
    .vgpr_count:                 256
    .vgpr_spill_count:           0
    .wavefront_size:             64
...
.end_amdgpu_metadata
Cijk_Ailk_Bljk_BBS_BH_MT256x224x64_MI16x16x16x1_SN_1LDSB1_APM1_AF0EM8_AF1EM8_AMAS3_ASE_ASGT3256_ASLT_ASM_ASAE01_ASCE01_ASEM64_BL1_BS1_CLR0_DTVA0_DTVB0_ETSP_EPS1_ELFLR4_EMLL0_FSSC10_FL0_GLVWA8_GLVWB4_GRCGA1_GRPM1_GRVWn1_GSU1_GSUASB_GLS0_IU1_K1_LBSPPA0_LBSPPB128_LPA0_LPB4_LRVW4_LWPMn1_MIAV0_MKFGSU256_NTA0_NTB0_NTC3_NTD3_NEPBS0_NLCA2_NLCB1_ONLL1_PGR2_PLR5_PKA0_SIA3_SLW1_SS1_SU8_SUM0_SUS128_SPO1_SRVW0_SSO0_SVW4_TSGRA0_TSGRB0_TT4_224_TLDS1_UMLDSA0_UMLDSB1_USFGROn1_VAW1_VSn1_VW4_VWB1_VFLRP1_WSGRA0_WSGRB0_WG64_4_1_WGM1:

/******************************************/
/* Asm syntax workarounds                 */
/******************************************/
.macro _v_add_co_u32 dst:req, cc:req, src0:req, src1:req, dpp=
   v_add_co_u32 \dst, \cc, \src0, \src1 \dpp
.endm

.macro _v_add_u32 dst:req, src0:req, src1:req, dpp=
   v_add_u32 \dst, \src0, \src1 \dpp
.endm

.macro _v_add_i32 dst:req, src0:req, src1:req, dpp=
   v_add_i32 \dst, \src0, \src1 \dpp
.endm

.macro _v_addc_co_u32 dst:req, ccOut:req, src0:req, ccIn:req, src1:req, dpp=
   v_addc_co_u32 \dst, \ccOut, \src0, \ccIn, \src1 \dpp
.endm

.macro _v_sub_co_u32 dst:req, cc:req, src0:req, src1:req, dpp=
   v_sub_co_u32 \dst, \cc, \src0, \src1 \dpp
.endm

.macro _v_sub_u32 dst:req, src0:req, src1:req, dpp=
   v_sub_u32 \dst, \src0, \src1 \dpp
.endm

.macro _v_sub_i32 dst:req, src0:req, src1:req, dpp=
   v_sub_i32 \dst, \src0, \src1 \dpp
.endm

.macro _v_add_lshl_u32 dst:req, src0:req, src1:req, shiftCnt:req
    v_add_lshl_u32 \dst, \src0, \src1, \shiftCnt
.endm

.macro _v_lshl_add_u32 dst:req, src0:req, src1:req, shiftCnt:req
    v_lshl_add_u32 \dst, \src0, \src1, \shiftCnt
.endm

.macro _v_lshl_or_b32 dst:req, src0:req, shiftCnt:req, src1:req
    v_lshl_or_b32 \dst, \src0, \shiftCnt, \src1
.endm

.macro _v_dot2acc_f32_f16 dst, src0, src1
v_dot2c_f32_f16 \dst, \src0, \src1
.endm

.macro _v_cmpx_lt_i16 dst, src0, src1=
   v_cmpx_lt_i16 \dst, \src0, \src1 
.endm

.macro _v_cmpx_lt_i32 dst, src0, src1=
   v_cmpx_lt_i32 \dst, \src0, \src1 
.endm

.macro _v_cmpx_lt_i64 dst, src0, src1=
   v_cmpx_lt_i64 \dst, \src0, \src1 
.endm

.macro _v_cmpx_lt_u16 dst, src0, src1=
   v_cmpx_lt_u16 \dst, \src0, \src1 
.endm

.macro _v_cmpx_lt_u32 dst, src0, src1=
   v_cmpx_lt_u32 \dst, \src0, \src1 
.endm

.macro _v_cmpx_lt_u64 dst, src0, src1=
   v_cmpx_lt_u64 \dst, \src0, \src1 
.endm

.macro _v_cmpx_eq_i16 dst, src0, src1=
   v_cmpx_eq_i16 \dst, \src0, \src1 
.endm

.macro _v_cmpx_eq_i32 dst, src0, src1=
   v_cmpx_eq_i32 \dst, \src0, \src1 
.endm

.macro _v_cmpx_eq_i64 dst, src0, src1=
   v_cmpx_eq_i64 \dst, \src0, \src1 
.endm

.macro _v_cmpx_eq_u16 dst, src0, src1=
   v_cmpx_eq_u16 \dst, \src0, \src1 
.endm

.macro _v_cmpx_eq_u32 dst, src0, src1=
   v_cmpx_eq_u32 \dst, \src0, \src1 
.endm

.macro _v_cmpx_eq_u64 dst, src0, src1=
   v_cmpx_eq_u64 \dst, \src0, \src1 
.endm

.macro _v_cmpx_le_i16 dst, src0, src1=
   v_cmpx_le_i16 \dst, \src0, \src1 
.endm

.macro _v_cmpx_le_i32 dst, src0, src1=
   v_cmpx_le_i32 \dst, \src0, \src1 
.endm

.macro _v_cmpx_le_i64 dst, src0, src1=
   v_cmpx_le_i64 \dst, \src0, \src1 
.endm

.macro _v_cmpx_le_u16 dst, src0, src1=
   v_cmpx_le_u16 \dst, \src0, \src1 
.endm

.macro _v_cmpx_le_u32 dst, src0, src1=
   v_cmpx_le_u32 \dst, \src0, \src1 
.endm

.macro _v_cmpx_le_u64 dst, src0, src1=
   v_cmpx_le_u64 \dst, \src0, \src1 
.endm

.macro _v_cmpx_gt_i16 dst, src0, src1=
   v_cmpx_gt_i16 \dst, \src0, \src1 
.endm

.macro _v_cmpx_gt_i32 dst, src0, src1=
   v_cmpx_gt_i32 \dst, \src0, \src1 
.endm

.macro _v_cmpx_gt_i64 dst, src0, src1=
   v_cmpx_gt_i64 \dst, \src0, \src1 
.endm

.macro _v_cmpx_gt_u16 dst, src0, src1=
   v_cmpx_gt_u16 \dst, \src0, \src1 
.endm

.macro _v_cmpx_gt_u32 dst, src0, src1=
   v_cmpx_gt_u32 \dst, \src0, \src1 
.endm

.macro _v_cmpx_gt_u64 dst, src0, src1=
   v_cmpx_gt_u64 \dst, \src0, \src1 
.endm

.macro _v_cmpx_ne_i16 dst, src0, src1=
   v_cmpx_ne_i16 \dst, \src0, \src1 
.endm

.macro _v_cmpx_ne_i32 dst, src0, src1=
   v_cmpx_ne_i32 \dst, \src0, \src1 
.endm

.macro _v_cmpx_ne_i64 dst, src0, src1=
   v_cmpx_ne_i64 \dst, \src0, \src1 
.endm

.macro _v_cmpx_ne_u16 dst, src0, src1=
   v_cmpx_ne_u16 \dst, \src0, \src1 
.endm

.macro _v_cmpx_ne_u32 dst, src0, src1=
   v_cmpx_ne_u32 \dst, \src0, \src1 
.endm

.macro _v_cmpx_ne_u64 dst, src0, src1=
   v_cmpx_ne_u64 \dst, \src0, \src1 
.endm

.macro _v_cmpx_lg_i16 dst, src0, src1=
   v_cmpx_lg_i16 \dst, \src0, \src1 
.endm

.macro _v_cmpx_lg_i32 dst, src0, src1=
   v_cmpx_lg_i32 \dst, \src0, \src1 
.endm

.macro _v_cmpx_lg_i64 dst, src0, src1=
   v_cmpx_lg_i64 \dst, \src0, \src1 
.endm

.macro _v_cmpx_lg_u16 dst, src0, src1=
   v_cmpx_lg_u16 \dst, \src0, \src1 
.endm

.macro _v_cmpx_lg_u32 dst, src0, src1=
   v_cmpx_lg_u32 \dst, \src0, \src1 
.endm

.macro _v_cmpx_lg_u64 dst, src0, src1=
   v_cmpx_lg_u64 \dst, \src0, \src1 
.endm

.macro _v_cmpx_ge_i16 dst, src0, src1=
   v_cmpx_ge_i16 \dst, \src0, \src1 
.endm

.macro _v_cmpx_ge_i32 dst, src0, src1=
   v_cmpx_ge_i32 \dst, \src0, \src1 
.endm

.macro _v_cmpx_ge_i64 dst, src0, src1=
   v_cmpx_ge_i64 \dst, \src0, \src1 
.endm

.macro _v_cmpx_ge_u16 dst, src0, src1=
   v_cmpx_ge_u16 \dst, \src0, \src1 
.endm

.macro _v_cmpx_ge_u32 dst, src0, src1=
   v_cmpx_ge_u32 \dst, \src0, \src1 
.endm

.macro _v_cmpx_ge_u64 dst, src0, src1=
   v_cmpx_ge_u64 \dst, \src0, \src1 
.endm

.macro _v_cmpx_o_i16 dst, src0, src1=
   v_cmpx_o_i16 \dst, \src0, \src1 
.endm

.macro _v_cmpx_o_i32 dst, src0, src1=
   v_cmpx_o_i32 \dst, \src0, \src1 
.endm

.macro _v_cmpx_o_i64 dst, src0, src1=
   v_cmpx_o_i64 \dst, \src0, \src1 
.endm

.macro _v_cmpx_o_u16 dst, src0, src1=
   v_cmpx_o_u16 \dst, \src0, \src1 
.endm

.macro _v_cmpx_o_u32 dst, src0, src1=
   v_cmpx_o_u32 \dst, \src0, \src1 
.endm

.macro _v_cmpx_o_u64 dst, src0, src1=
   v_cmpx_o_u64 \dst, \src0, \src1 
.endm

.macro _v_cmpx_u_i16 dst, src0, src1=
   v_cmpx_u_i16 \dst, \src0, \src1 
.endm

.macro _v_cmpx_u_i32 dst, src0, src1=
   v_cmpx_u_i32 \dst, \src0, \src1 
.endm

.macro _v_cmpx_u_i64 dst, src0, src1=
   v_cmpx_u_i64 \dst, \src0, \src1 
.endm

.macro _v_cmpx_u_u16 dst, src0, src1=
   v_cmpx_u_u16 \dst, \src0, \src1 
.endm

.macro _v_cmpx_u_u32 dst, src0, src1=
   v_cmpx_u_u32 \dst, \src0, \src1 
.endm

.macro _v_cmpx_u_u64 dst, src0, src1=
   v_cmpx_u_u64 \dst, \src0, \src1 
.endm
.macro _v_mac_f32 c:req, a:req, b:req
    v_fmac_f32 \c, \a, \b
.endmacro

/* scale global load macros */
.macro _s_load_b32 dst base offset
    s_load_dword \dst \base \offset
.endm

.macro _s_load_b64 dst base offset
    s_load_dwordx2 \dst \base \offset
.endm

.macro _s_load_b128 dst base offset
    s_load_dwordx4 \dst \base \offset
.endm

.macro _s_load_b256 dst base offset
    s_load_dwordx8 \dst \base \offset
.endm

.macro _s_load_b512 dst base offset
    s_load_dwordx16 \dst \base \offset
.endm


/* ds operation macros */
.macro _ds_load_u8 dst src offset
    ds_read_u8 \dst \src \offset
.endm

.macro _ds_load_u8_d16_hi dst src offset
    ds_read_u8_d16_hi \dst \src \offset
.endm

.macro _ds_load_u16 dst src offset
    ds_read_u16 \dst \src \offset
.endm

.macro _ds_load_u16_d16_hi dst src offset
    ds_read_u16_d16_hi \dst \src \offset
.endm

.macro _ds_load_b32 dst src offset
    ds_read_b32 \dst \src \offset
.endm

.macro _ds_load_b64 dst src offset
    ds_read_b64 \dst \src \offset
.endm

.macro _ds_load_b128 dst src offset
    ds_read_b128 \dst \src \offset
.endm

.macro _ds_store_b8 dst src offset
    ds_write_b8 \dst \src \offset
.endm

.macro _ds_store_b8_d16_hi dst src offset
    ds_write_b8_d16_hi \dst \src \offset
.endm

.macro _ds_store_b16 dst src offset
    ds_write_b16 \dst \src \offset
.endm

.macro _ds_store_b16_d16_hi dst src offset
    ds_write_b16_d16_hi \dst \src \offset
.endm

.macro _ds_store_b32 dst src offset
    ds_write_b32 \dst \src \offset
.endm

.macro _ds_store_b64 dst src offset
    ds_write_b64 \dst \src \offset
.endm

.macro _ds_store_b128 dst src offset
    ds_write_b128 \dst \src \offset
.endm

.macro _ds_load2_b32 dst src offset1 offset2
    ds_read2_b32 \dst \src \offset1 \offset2
.endm

.macro _ds_load2_b64 dst src offset1 offset2
    ds_read2_b64 \dst \src \offset1 \offset2
.endm

.macro _ds_store2_b32 dst src offset1 offset2
    ds_write2_b32 \dst \src \offset1 \offset2
.endm

.macro _ds_store2_b64 dst src offset1 offset2
    ds_write2_b64 \dst \src \offset1 \offset2
.endm


/* buffer memory operation macros */
.macro _buffer_load_b32 dst voffset base soffset offen ioffset md0 md1 md2
    buffer_load_dword \dst \voffset \base \soffset \offen \ioffset \md0 \md1 \md2
.endm

.macro _buffer_load_b64 dst voffset base soffset offen ioffset md0 md1 md2
    buffer_load_dwordx2 \dst \voffset \base \soffset \offen \ioffset \md0 \md1 \md2
.endm

.macro _buffer_load_b96 dst voffset base soffset offen ioffset md0 md1 md2
    buffer_load_dwordx3 \dst \voffset \base \soffset \offen \ioffset \md0 \md1 \md2
.endm

.macro _buffer_load_b128 dst voffset base soffset offen ioffset md0 md1 md2
    buffer_load_dwordx4 \dst \voffset \base \soffset \offen \ioffset \md0 \md1 \md2
.endm

.macro _buffer_load_d16_b16 dst voffset base soffset offen ioffset md0 md1 md2
    buffer_load_short_d16 \dst \voffset \base \soffset \offen \ioffset \md0 \md1 \md2
.endm

.macro _buffer_load_d16_hi_b16 dst voffset base soffset offen ioffset md0 md1 md2
    buffer_load_short_d16_hi \dst \voffset \base \soffset \offen \ioffset \md0 \md1 \md2
.endm

.macro _buffer_load_d16_u8 dst voffset base soffset offen ioffset md0 md1 md2
    buffer_load_ubyte_d16 \dst \voffset \base \soffset \offen \ioffset \md0 \md1 \md2
.endm

.macro _buffer_load_d16_hi_u8 dst voffset base soffset offen ioffset md0 md1 md2
    buffer_load_ubyte_d16_hi \dst \voffset \base \soffset \offen \ioffset \md0 \md1 \md2
.endm

.macro _buffer_load_u16 dst voffset base soffset offen ioffset md0 md1 md2
    buffer_load_ushort \dst \voffset \base \soffset \offen \ioffset \md0 \md1 \md2
.endm

.macro _buffer_load_b32_dtl voffset base soffset offen ioffset md0 md1 md2
    buffer_load_dword \voffset \base \soffset \offen \ioffset \md0 \md1 \md2
.endm

.macro _buffer_load_b64_dtl voffset base soffset offen ioffset md0 md1 md2
    buffer_load_dwordx2 \voffset \base \soffset \offen \ioffset \md0 \md1 \md2
.endm

.macro _buffer_load_b128_dtl voffset base soffset offen ioffset md0 md1 md2
    buffer_load_dwordx4 \voffset \base \soffset \offen \ioffset \md0 \md1 \md2
.endm

.macro _buffer_load_u16_dtl voffset base soffset offen ioffset md0 md1 md2
    buffer_load_ushort \voffset \base \soffset \offen \ioffset \md0 \md1 \md2
.endm

.macro _buffer_store_b32 src voffset base soffset offen ioffset md0 md1 md2
    buffer_store_dword \src \voffset \base \soffset \offen \ioffset \md0 \md1 \md2
.endm

.macro _buffer_store_b64 src voffset base soffset offen ioffset md0 md1 md2
    buffer_store_dwordx2 \src \voffset \base \soffset \offen \ioffset \md0 \md1 \md2
.endm

.macro _buffer_store_b96 src voffset base soffset offen ioffset md0 md1 md2
    buffer_store_dwordx3 \src \voffset \base \soffset \offen \ioffset \md0 \md1 \md2
.endm

.macro _buffer_store_b128 src voffset base soffset offen ioffset md0 md1 md2
    buffer_store_dwordx4 \src \voffset \base \soffset \offen \ioffset \md0 \md1 \md2
.endm

.macro _buffer_store_b16 src voffset base soffset offen ioffset md0 md1 md2
    buffer_store_short \src \voffset \base \soffset \offen \ioffset \md0 \md1 \md2
.endm

.macro _buffer_store_d16_hi_b16 src voffset base soffset offen ioffset md0 md1 md2
    buffer_store_short_d16_hi \src \voffset \base \soffset \offen \ioffset \md0 \md1 \md2
.endm

.macro _buffer_store_b8 src voffset base soffset offen ioffset md0 md1 md2
    buffer_store_byte \src \voffset \base \soffset \offen \ioffset \md0 \md1 \md2
.endm

.macro _buffer_store_d16_hi_b8 src voffset base soffset offen ioffset md0 md1 md2
    buffer_store_byte_d16_hi \src \voffset \base \soffset \offen \ioffset \md0 \md1 \md2
.endm

.macro _buffer_atomic_cmpswap_b32 dst voffset base soffset offen ioffset md0 md1 md2
    buffer_atomic_cmpswap \dst \voffset \base \soffset \offen \ioffset \md0 \md1 \md2
.endm

.macro _buffer_atomic_cmpswap_b64 dst voffset base soffset offen ioffset md0 md1 md2
    buffer_atomic_cmpswap_x2 \dst \voffset \base \soffset \offen \ioffset \md0 \md1 \md2
.endm


/* buffer memory operation macros */
.macro _global_load_b32 dst base src ioffset md0 md1 md2
    global_load_dword \dst \base \src \ioffset \md0 \md1 \md2
.endm

.macro _global_load_b64 dst base src ioffset md0 md1 md2
    global_load_dwordx2 \dst \base \src \ioffset \md0 \md1 \md2
.endm

.macro _global_load_b96 dst base src ioffset md0 md1 md2
    global_load_dwordx3 \dst \base \src \ioffset \md0 \md1 \md2
.endm

.macro _global_load_b128 dst base src ioffset md0 md1 md2
    global_load_dwordx4 \dst \base \src \ioffset \md0 \md1 \md2
.endm

.macro _global_load_d16_b16 dst base src ioffset md0 md1 md2
    global_load_short_d16 \dst \base \src \ioffset \md0 \md1 \md2
.endm

.macro _global_load_d16_hi_b16 dst base src ioffset md0 md1 md2
    global_load_short_d16_hi \dst \base \src \ioffset \md0 \md1 \md2
.endm

.macro _global_load_d16_u8 dst base src ioffset md0 md1 md2
    global_load_ubyte_d16 \dst \base \src \ioffset \md0 \md1 \md2
.endm

.macro _global_load_d16_hi_u8 dst base src ioffset md0 md1 md2
    global_load_ubyte_d16_hi \dst \base \src \ioffset \md0 \md1 \md2
.endm

.macro _global_load_u16 dst base src ioffset md0 md1 md2
    global_load_ushort \dst \base \src \ioffset \md0 \md1 \md2
.endm

.macro _global_store_b32 base src src2 md0 md1 md2
    global_store_dword \base \src \src2 \md0 \md1 \md2
.endm

.macro _global_store_b64 base src src2 md0 md1 md2
    global_store_dwordx2 \base \src \src2 \md0 \md1 \md2
.endm

.macro _global_store_b96 base src src2 md0 md1 md2
    global_store_dwordx3 \base \src \src2 \md0 \md1 \md2
.endm

.macro _global_store_b128 base src src2 md0 md1 md2
    global_store_dwordx4 \base \src \src2 \md0 \md1 \md2
.endm

.macro _global_store_d16_b16 base src src2 md0 md1 md2
    global_store_short \base \src \src2 \md0 \md1 \md2
.endm

.macro _global_store_d16_hi_b16 base src src2 md0 md1 md2
    global_store_short_d16_hi \base \src \src2 \md0 \md1 \md2
.endm

.macro _global_store_d16_u8 base src src2 md0 md1 md2
    global_store_ubyte_d16 \base \src \src2 \md0 \md1 \md2
.endm

.macro _global_store_d16_hi_u8 base src src2 md0 md1 md2
    global_store_ubyte_d16_hi \base \src \src2 \md0 \md1 \md2
.endm

.macro _global_store_u16 base src src2 md0 md1 md2
    global_store_ushort \base \src \src2 \md0 \md1 \md2
.endm

.macro _global_atomic_cmpswap_b32 tmp base data src ioffset md
    global_atomic_cmpswap \tmp \base \data \src \ioffset \md
.endm

.macro _global_atomic_cmpswap_b64 tmp base data src ioffset md
    global_atomic_cmpswap_x2 \tmp \base \data \src \ioffset \md
.endm


/******************************************/
/* Magic div and mod functions            */
/******************************************/
.macro V_MAGIC_DIV dstIdx:req, dividend:req, magicNumber:req, magicShift:req, magicA:req
    v_mul_hi_u32 v[\dstIdx+1], \dividend, \magicNumber
    v_mul_lo_u32 v[\dstIdx+0], \dividend, \magicA
    _v_add_u32 v[\dstIdx+0], v[\dstIdx+0], v[\dstIdx+1]
    v_lshrrev_b32 v[\dstIdx+0], \magicShift, v[\dstIdx+0]
.endm

/******************************************/
/* VGPR Assignments                       */
/******************************************/
/* ValuC range: [0-0), serializedStore enabled */
.set vgprValuC, 0
/* ValuA/B   Xn=PLR buffer idx,  In=InnerUnroll idx */
.set vgprValuA_X0_I0, 0
.set vgprValuA_X1_I0, 8
.set vgprValuA_X2_I0, 16
.set vgprValuA_X3_I0, 24
.set vgprValuA_X0_I0_D1, 32
.set vgprValuA_X1_I0_D1, 40
.set vgprValuA_X2_I0_D1, 48
.set vgprValuA_X3_I0_D1, 56
.set vgprG2LA, 180
.set vgprValuB_X0_I0, 64
.set vgprValuB_X1_I0, 92
.set vgprValuB_X2_I0, 120
.set vgprValuB_X3_I0, 148
.set vgprG2LB, 212
.set vgprLocalWriteAddrA, 176
.set vgprLocalWriteAddrB, 177
.set vgprGlobalReadOffsetA, 178
.set vgprGlobalReadOffsetB, 179
.set vgprLocalReadAddrA, 240
.set vgprLocalReadAddrB, 241
.set vgprSerial, 242
/* Num VGPR=256 */
/* Num AccVGPR=224 */

/******************************************/
/* SGPR Assignments                       */
/******************************************/
.set sgprKernArgAddress, 0 // (2)
.set sgprWorkGroup0, 2 // (1)
.set sgprWorkGroup1, 3 // (1)
.set sgprWorkGroup2, 4 // (1)
.set sgprLoopCounterL, 5 // (1)
.set sgprOrigLoopCounter, 6 // (1)
.set sgprSrdA, 8 // (4)
.set sgprSrdB, 12 // (4)
.set sgprSrdD, 16 // (4)
.set sgprSrdC, 20 // (4)
.set sgprTensor2dSizeA, 24 // (2)
.set sgprTensor2dSizeB, 26 // (2)
.set sgprAddressD, 28 // (2)
.set sgprAddressC, 30 // (2)
.set sgprAddressA, 32 // (2)
.set sgprAddressB, 34 // (2)
.set sgprAlpha, 36 // (1)
.set sgprBeta, 37 // (1)
.set sgprStridesD, 38 // (2)
.set sgprStridesC, 40 // (2)
.set sgprStridesA, 42 // (2)
.set sgprStridesB, 44 // (2)
.set sgprSizesFree, 46 // (3)
.set sgprSizesSum, 49 // (1)
.set sgprOrigStaggerUIter, 50 // (1)
.set sgprNumWorkGroups0, 51 // (1)
.set sgprNumWorkGroups1, 52 // (1)
.set sgprShadowLimitA, 0 // (2)
.set sgprShadowLimitB, 28 // (2)
.set sgprStaggerUIter, 7 // (1)
.set sgprWrapUA, 30 // (2)
.set sgprWrapUB, 32 // (2)
.set sgprGlobalReadIncsA, 34 // (1)
.set sgprGlobalReadIncsB, 35 // (1)
.set sgprScalarGlobalReadOffsetA, 56 // (7)
.set sgprScalarGlobalReadOffsetB, 63 // (13)
/* max SGPR=80 */

/* Size Assignments */
.set sgprSizeI, sgprSizesFree+0
.set sgprSizeJ, sgprSizesFree+1
.set sgprSizeK, sgprSizesFree+2
.set sgprSizeL, sgprSizesSum+0

/* Stride Assignments */
.set constStrideD0I, 1
.set sgprStrideD1J, sgprStridesD+0
.set sgprStrideDK, sgprStridesD+1
.set constStrideC0I, 1
.set sgprStrideC1J, sgprStridesC+0
.set sgprStrideCK, sgprStridesC+1
.set constStrideA0I, 1
.set sgprStrideAL, sgprStridesA+0
.set sgprStrideAK, sgprStridesA+1
.set constStrideBL, 1
.set sgprStrideB1J, sgprStridesB+0
.set sgprStrideBK, sgprStridesB+1

.set MT0, 256
.set MT1, 224
.set DepthU, 64
.set GSU, 1
.set BpeA, 2
.set BpeALog2, 1
.set BpeB, 2
.set BpeBLog2, 1
/* Number of elements to shift-left SRD */
.set SrdShiftLeftA, 8
.set SrdShiftLeftB, 4
/* 2GB limit - set offsets to -1 to exceed this and clamp */
.set BufferLimitA, 0xffffffff
.set BufferLimitB, 0xffffffff
.set BufferOOB, 0xfffff000

/******************************************/
/* Bits 127:96 of SRD.                    */
/* hex: 0x00020000                        */
/* dst_sel_x (3b): 0                      */
/* dst_sel_y (3b): 0                      */
/* dst_sel_z (3b): 0                      */
/* dst_sel_w (3b): 0                      */
/* num_format (3b): 0                     */
/* data_format (4b): 4                    */
/* user_vm_enable (1b): 0                 */
/* user_vm_mode (1b): 0                   */
/* index_stride (2b): 0                   */
/* add_tid_enable (1b): 0                 */
/* _unusedA (3b): 0                       */
/* nv (1b): 0                             */
/* _unusedB (2b): 0                       */
/* type (2b): 0                           */
/******************************************/
.set Srd127_96, 0x00020000

/* Global Offset A */
.macro GLOBAL_OFFSET_A vgprAddr:req vgprOffset0I:req vgprOffsetL:req vgprTmp:req
v_mul_lo_u32 v[\vgprTmp+0], s[sgprStrideAL], v[\vgprOffsetL] // mul d1 lower
_v_add_co_u32 v[\vgprAddr+0], vcc, v[\vgprOffset0I], v[\vgprTmp+0] // accumulate K lower
_v_add_u32 v[\vgprAddr+0], 0x8, v[\vgprAddr+0]     // add prepad for pointer shift
v_lshlrev_b32 v[\vgprAddr+0], 0x1, v[\vgprAddr+0]  // offset *= bytes/element
.endm

/* Global Offset B */
.macro GLOBAL_OFFSET_B vgprAddr:req vgprOffsetL:req vgprOffset1J:req vgprTmp:req
v_mul_lo_u32 v[\vgprTmp+0], s[sgprStrideB1J], v[\vgprOffset1J] // mul d1 lower
_v_add_co_u32 v[\vgprAddr+0], vcc, v[\vgprOffsetL], v[\vgprTmp+0] // accumulate K lower
_v_add_u32 v[\vgprAddr+0], 0x4, v[\vgprAddr+0]     // add prepad for pointer shift
v_lshlrev_b32 v[\vgprAddr+0], 0x1, v[\vgprAddr+0]  // offset *= bytes/element
.endm

/******************************************/
/* Dynamic Scalar Divide: vQuotient=vDividend/vDivisor; vRemainder=vDividend%vDivisor; */
/******************************************/
.macro DYNAMIC_VECTOR_DIVIDE vQuotient vRemainder vDividend vDivisor vTmp0 vTmp1 sTmp
v_cvt_f32_u32 v[\vQuotient], v[\vDivisor]          // 
v_rcp_f32 v[\vQuotient], v[\vQuotient]             // 
v_mul_f32 v[\vQuotient], 0x4f800000, v[\vQuotient] // 
v_cvt_u32_f32 v[\vQuotient], v[\vQuotient]         // 
v_mul_lo_u32 v[\vRemainder], v[\vDivisor], v[\vQuotient] // 
v_mul_hi_u32 v[\vTmp0], v[\vDivisor], v[\vQuotient] // 
_v_sub_co_u32 v[\vTmp1], vcc, 0x0, v[\vRemainder]  // 
v_cmp_ne_i32 s[\sTmp:\sTmp+1], 0x0, v[\vTmp0]      // 
v_cndmask_b32 v[\vRemainder], v[\vTmp1], v[\vRemainder], s[\sTmp:\sTmp+1] // 
v_mul_hi_u32 v[\vRemainder], v[\vRemainder], v[\vQuotient] // 
_v_sub_co_u32 v[\vTmp0], vcc, v[\vQuotient], v[\vRemainder] // 
_v_add_co_u32 v[\vQuotient], vcc, v[\vQuotient], v[\vRemainder] // 
v_cndmask_b32 v[\vQuotient], v[\vQuotient], v[\vTmp0], s[\sTmp:\sTmp+1] // 
v_mul_hi_u32 v[\vQuotient], v[\vQuotient], v[\vDividend] // 
v_mul_lo_u32 v[\vRemainder], v[\vQuotient], v[\vDivisor] // 
_v_sub_co_u32 v[\vTmp0], vcc, v[\vDividend], v[\vRemainder] // 
v_cmp_ge_u32 s[\sTmp:\sTmp+1], v[\vDividend], v[\vRemainder] // 
_v_add_co_u32 v[\vRemainder], vcc, 0x1, v[\vQuotient] // 
_v_add_co_u32 v[\vTmp1], vcc, -1, v[\vQuotient]    // 
v_cmp_le_u32 vcc, v[\vDivisor], v[\vTmp0]          // 
s_and_b64 vcc, s[\sTmp:\sTmp+1], vcc               // 
v_cndmask_b32 v[\vQuotient], v[\vQuotient], v[\vRemainder], vcc // 
v_cndmask_b32 v[\vQuotient], v[\vTmp1], v[\vQuotient], s[\sTmp:\sTmp+1] // 
v_cmp_ne_i32 vcc, 0x0, v[\vDivisor]                // 
v_cndmask_b32 v[\vQuotient], -1, v[\vQuotient], vcc // final result
v_mul_lo_u32 v[\vRemainder], v[\vQuotient], v[\vDivisor] // 
_v_sub_co_u32 v[\vRemainder], vcc, v[\vDividend], v[\vRemainder] // final result
.endm


	;; [unrolled: 1-line block ×3, first 2 shown]
/******************************************/
/* Allocate Resources                     */
/******************************************/

Cijk_Ailk_Bljk_BBS_BH_MT256x224x64_MI16x16x16x1_SN_1LDSB1_APM1_AF0EM8_AF1EM8_AMAS3_ASE_ASGT3256_ASLT_ASM_ASAE01_ASCE01_ASEM64_BL1_BS1_CLR0_DTVA0_DTVB0_ETSP_EPS1_ELFLR4_EMLL0_FSSC10_FL0_GLVWA8_GLVWB4_GRCGA1_GRPM1_GRVWn1_GSU1_GSUASB_GLS0_IU1_K1_LBSPPA0_LBSPPB128_LPA0_LPB4_LRVW4_LWPMn1_MIAV0_MKFGSU256_NTA0_NTB0_NTC3_NTD3_NEPBS0_NLCA2_NLCB1_ONLL1_PGR2_PLR5_PKA0_SIA3_SLW1_SS1_SU8_SUM0_SUS128_SPO1_SRVW0_SSO0_SVW4_TSGRA0_TSGRB0_TT4_224_TLDS1_UMLDSA0_UMLDSB1_USFGROn1_VAW1_VSn1_VW4_VWB1_VFLRP1_WSGRA0_WSGRB0_WG64_4_1_WGM1_preloaded: // Kernel start when preloading
s_setprio 3                                        // optimization store

/* Load Kernel Args */
_s_load_b512 s[24:39], s[sgprKernArgAddress:sgprKernArgAddress+1], 0x0 // 
_s_load_b256 s[40:47], s[sgprKernArgAddress:sgprKernArgAddress+1], 0x40 // 
_s_load_b128 s[48:51], s[sgprKernArgAddress:sgprKernArgAddress+1], 0x60 // 
_s_load_b32 s52, s[sgprKernArgAddress:sgprKernArgAddress+1], 0x70 // 
s_mov_b32 m0, 0xf700                               // LDS clamp at 63232 bytes
v_mov_b32 v[vgprSerial], v0                        // thread serial id

/******************************************/
/* Local Read Addresses                   */
/******************************************/


/* local read addresses: tile assignments a/b */

/*lr0I*/
v_and_b32 v1, 63, v[vgprSerial]                    // 0. thread id in wave: wtid = tid % wavelength(64)
v_and_b32 v0, 15, v1                               // 1. N offset: nIdx = wtid % MI_N(16)
                                                   // 1. N offset: nOffset = nIdx * nStride(1) (multiplier is 1, do nothing)
                                                   // 2. block offset: bnIdx = bnIdx % num1DBlocks(1) is 0. do nothing
v_lshlrev_b32 v0, 0x2, v0                          // 4. apply VectorWidth: bnOffset = bnOffset * vw(4)
v_lshrrev_b32 v1, 4, v1                            // 5. K offset: kIdx = wtid / (MIN(16) * MIBB(1))
v_lshlrev_b32 v1, 0xa, v1                          // 5. K offset: lrKOffset = kIdx * mStride(1024)
_v_add_u32 v0, v1, v0                              // 6. offset in wave: lrOffset = bnOffset + lrKOffset
v_lshrrev_b32 v2, 6, v[vgprSerial]                 // 7. wave offset in N dimen: wtid = tid / dividedForWaveId(64)
v_and_b32 v1, 3, v2                                // 7. wave offset in M dimen: wtid0 = wtid / num1DWaves(4)
v_lshlrev_b32 v1, 0x6, v1                          // 7. wave offset in M dimen: wOffset = wtid0 * W0Stride(64)
_v_add_u32 v0, v1, v0                              // 8. final local read offset: flrOffset = lrOffset + WOffset
/*lr1J*/
v_and_b32 v2, 63, v[vgprSerial]                    // 0. thread id in wave: wtid = tid % wavelength(64)
v_and_b32 v1, 15, v2                               // 1. N offset: nIdx = wtid % MI_N(16)
v_lshlrev_b32 v1, 0x6, v1                          // 1. N offset: nOffset = nIdx * nStride(64)
                                                   // 2. block offset: bnIdx = bnIdx % num1DBlocks(1) is 0. do nothing
                                                   // 4. apply VectorWidth: bnOffset = bnOffset * vw(1) (multiplier is 1, do nothing)
v_lshrrev_b32 v2, 4, v2                            // 5. K offset: kIdx = wtid / (MIN(16) * MIBB(1))
v_lshlrev_b32 v2, 0x2, v2                          // 5. K offset: lrKOffset = kIdx * mStride(4)
_v_add_u32 v1, v2, v1                              // 6. offset in wave: lrOffset = bnOffset + lrKOffset


/* local read addresses: final offsets a */

v_lshlrev_b32 v[vgprLocalReadAddrA], 0x1, v0       // Final Offset: offset = (lro0)*bpe


/* local read addresses: final offsets b */

v_lshlrev_b32 v[vgprLocalReadAddrB], 0x1, v1       // Final Offset: offset = (lro1)*bpe
v_lshrrev_b32 v0, 7, v[vgprLocalReadAddrB]         // Final Offset: padding 4 per block 128
v_lshlrev_b32 v0, 0x3, v0                          // Final Offset: padding 4 per block 128
_v_add_u32 v[vgprLocalReadAddrB], v0, v[vgprLocalReadAddrB] // Final Offset: add padding 4 per block 128


/* local read addresses: declare addresses a */

/* N/A */


/* local read addresses: declare addresses b */

_v_add_co_u32 v[vgprLocalReadAddrB+0], vcc, 0x8000, v[vgprLocalReadAddrB+0] //  += LdsOffsetB (lower)


/* global read addresses: tile offset assignment a */

/* LVCA = 16 */
/* v0 = (local)groA-tile = serial%LVCA (note (wgA*MTA) will be added to SRD) */
/* v1 = groA-unroll = serial/LVCA */
v_lshrrev_b32 v1, 4, v[vgprSerial]                 // v1 = v[vgprSerial] / 16
v_and_b32 v0, 15, v[vgprSerial]                    // v0 = v[vgprSerial] % 16
/* gro-tile *= glvw */
v_lshlrev_b32 v0, 0x3, v0                          // v0 = v0 * 8


/* global read addresses: tile offset assignment b */

/* LVCB = 16 */
/* v2 = (local)groB-tile = serial/LVCB (note (wgB*MTB) will be added to SRD) */
/* v3 = groB-unroll = serial%LVCB */
v_lshrrev_b32 v2, 4, v[vgprSerial]                 // v2 = v[vgprSerial] / 16
v_and_b32 v3, 15, v[vgprSerial]                    // v3 = v[vgprSerial] % 16
/* gro-unroll *= glvw */
v_lshlrev_b32 v3, 0x2, v3                          // v3 = v3 * 4


/******************************************/
/* Local Write Addresses                  */
/******************************************/

/* lwaTileAssignmentA = v0 */

/* lwaTileAssignmentB = v2 */

/* lwaUnrollAssignmentA = v1 */

/* lwaUnrollAssignmentB = v3 */


/* local write addresses: first offset a */

v_mul_u32_u24 v[vgprLocalWriteAddrA], 0x100, v1    // lwAL**(MTA + PAD)
_v_add_lshl_u32 v[vgprLocalWriteAddrA], v0, v[vgprLocalWriteAddrA], 0x1 // lwFOA = (lwAA + lwAL*(MT0I+PAD))*bpe


/* local write addresses: first offset b */

v_mul_u32_u24 v[vgprLocalWriteAddrB], 0x40, v2     // lwBL**(DepthU_Compute + PAD)
_v_add_lshl_u32 v[vgprLocalWriteAddrB], v3, v[vgprLocalWriteAddrB], 0x1 // lwFOB = (lwBB + lwBL*(DepthU+PAD))*bpe
v_lshrrev_b32 v4, 7, v[vgprLocalWriteAddrB]        // padding 4 per block 128
v_lshlrev_b32 v4, 0x3, v4                          // padding 4 per block 128
_v_add_u32 v[vgprLocalWriteAddrB], v4, v[vgprLocalWriteAddrB] // add padding 4 per block 128
_v_add_co_u32 v[vgprLocalWriteAddrB], vcc, 0x8000, v[vgprLocalWriteAddrB] // lwFOB = lwB1J + lwBL*MT1J + LDS_OFFSET_B=16384*2







s_waitcnt lgkmcnt(0)                               // wait for 116 bytes of kern args
s_mov_b64 s[sgprSrdC+0:sgprSrdC+0+1], s[sgprAddressC+0:sgprAddressC+0+1] // copy addressC
s_mov_b64 s[sgprSrdD+0:sgprSrdD+0+1], s[sgprAddressD+0:sgprAddressD+0+1] // copy addressD
s_sub_u32 s[sgprSrdA+0], s[sgprAddressA+0], 16     // pre-pad to make room for possible pointer shift
s_subb_u32 s[sgprSrdA+1], s[sgprAddressA+1], 0     // pre-pad to make room for possible pointer shift
s_sub_u32 s[sgprSrdB+0], s[sgprAddressB+0], 8      // pre-pad to make room for possible pointer shift
s_subb_u32 s[sgprSrdB+1], s[sgprAddressB+1], 0     // pre-pad to make room for possible pointer shift

.set AddressD, UNDEF
.set AddressC, UNDEF
.set AddressA, UNDEF
.set AddressB, UNDEF

/* Short circuit condition if Alpha == 0, then sumDims=0 */
v_cmp_eq_f32 vcc, s[sgprAlpha], 0.0                // Alpha == 0.0f ?
s_cbranch_vccz label_AlphaNonZero                  // branch if alpha != 0
s_mov_b32 s[sgprSizesSum+0], 0x0                   // Set summation dim=0 if Alpha == 0
label_AlphaNonZero:



/******************************************/
/* Begin setupNewTile, isPap=False           */
/******************************************/


/* global read addresses: work-group */

/* graWorkGroup mapping */


/* global read addresses: unroll assignment a */

/* v1 */


/* global read addresses: unroll assignment b */

/* v3 */


/* global read addresses: other free assignments */

/* s[sgprWorkGroup2] */


/* global read addresses: tile offsets a */


	;; [unrolled: 1-line block ×3, first 2 shown]
/* global read addresses: tile offsets b */


	;; [unrolled: 1-line block ×3, first 2 shown]
/* global read addresses: unroll offsets a */


	;; [unrolled: 1-line block ×3, first 2 shown]
/* global read addresses: unroll offsets b */



/* global read addresses: final offsets a */

GLOBAL_OFFSET_A vgprGlobalReadOffsetA+0,  0,  1, 4 // gROA_0_0_0_0
s_mul_i32 s[sgprScalarGlobalReadOffsetA+0], s[sgprStrideAL], 0 // compute offset diff (scaled unrollDim)
s_add_u32 s[sgprScalarGlobalReadOffsetA+0], s[sgprScalarGlobalReadOffsetA+0], 128 // compute offset diff (tileDim)
s_lshl_b32 s[sgprScalarGlobalReadOffsetA+0], s[sgprScalarGlobalReadOffsetA+0], 0x1 // scalar offset *= bytes/element
s_mul_i32 s[sgprScalarGlobalReadOffsetA+1], s[sgprStrideAL], 16 // compute offset diff (scaled unrollDim)
s_lshl_b32 s[sgprScalarGlobalReadOffsetA+1], s[sgprScalarGlobalReadOffsetA+1], 0x1 // scalar offset *= bytes/element
s_mul_i32 s[sgprScalarGlobalReadOffsetA+2], s[sgprStrideAL], 16 // compute offset diff (scaled unrollDim)
s_add_u32 s[sgprScalarGlobalReadOffsetA+2], s[sgprScalarGlobalReadOffsetA+2], 128 // compute offset diff (tileDim)
s_lshl_b32 s[sgprScalarGlobalReadOffsetA+2], s[sgprScalarGlobalReadOffsetA+2], 0x1 // scalar offset *= bytes/element
s_mul_i32 s[sgprScalarGlobalReadOffsetA+3], s[sgprStrideAL], 32 // compute offset diff (scaled unrollDim)
s_lshl_b32 s[sgprScalarGlobalReadOffsetA+3], s[sgprScalarGlobalReadOffsetA+3], 0x1 // scalar offset *= bytes/element
	;; [unrolled: 5-line block ×3, first 2 shown]
s_mul_i32 s[sgprScalarGlobalReadOffsetA+6], s[sgprStrideAL], 48 // compute offset diff (scaled unrollDim)
s_add_u32 s[sgprScalarGlobalReadOffsetA+6], s[sgprScalarGlobalReadOffsetA+6], 128 // compute offset diff (tileDim)
s_lshl_b32 s[sgprScalarGlobalReadOffsetA+6], s[sgprScalarGlobalReadOffsetA+6], 0x1 // scalar offset *= bytes/element


/* global read addresses: final offsets b */

GLOBAL_OFFSET_B vgprGlobalReadOffsetB+0,  3,  2, 4 // gROB_0_0_0_0
s_mul_i32 s[sgprScalarGlobalReadOffsetB+0], s[sgprStrideB1J], 16 // compute offset diff (scaled tileDim)
s_lshl_b32 s[sgprScalarGlobalReadOffsetB+0], s[sgprScalarGlobalReadOffsetB+0], 0x1 // scalar offset *= bytes/element
s_mul_i32 s[sgprScalarGlobalReadOffsetB+1], s[sgprStrideB1J], 32 // compute offset diff (scaled tileDim)
s_lshl_b32 s[sgprScalarGlobalReadOffsetB+1], s[sgprScalarGlobalReadOffsetB+1], 0x1 // scalar offset *= bytes/element
	;; [unrolled: 2-line block ×13, first 2 shown]


/* global read addresses: addresses a */

/* max read offset = size[n] * stride[n-1] */
s_mul_hi_u32 s79, s[sgprWorkGroup0], 256           // WorkGroup[01] * MT
s_mul_i32 s78, s[sgprWorkGroup0], 256              // WorkGroup[01] * MT
s_sub_u32 s[sgprShadowLimitA+0], s[sgprTensor2dSizeA], s78 // sub tileStart
s_subb_u32 s[sgprShadowLimitA+1], s[sgprTensor2dSizeA+1], s79 // sub tileStart
s_lshl_b64 s[sgprShadowLimitA:sgprShadowLimitA+1], s[sgprShadowLimitA:sgprShadowLimitA+1], 0x1 // Set limit to use bytes
s_add_u32 s[sgprShadowLimitA+0], s[sgprShadowLimitA+0], 16 // extend limit for pre-pad
s_addc_u32 s[sgprShadowLimitA+1], s[sgprShadowLimitA+1], 0 // extend limit for pre-pad
s_cmp_eq_u32 s[sgprShadowLimitA+1], 0              // are we within 2^32?
s_cselect_b32 s[sgprSrdA+2], s[sgprShadowLimitA+0], BufferLimitA // Move shadow to real if we are within 2^32
s_mul_hi_u32 s77, s[sgprStrideAK], s[sgprWorkGroup2] // Stride*WG
s_mul_i32 s76, s[sgprStrideAK], s[sgprWorkGroup2]  // Stride*WG
s_add_u32 s78, s78, s76                            // accum wg term to tilestart
s_addc_u32 s79, s79, s77                           // accum wg term to tilestart
s_lshl_b64 s[78:79], s[78:79], 0x1                 // tileStart *= BPE
s_add_u32 s[sgprSrdA+0], s[sgprSrdA+0], s78        // SRD base = Address+ tileStart0
s_addc_u32 s[sgprSrdA+1], s[sgprSrdA+1], s79       // SRD base = Address+ tileStart1
s_mov_b32 s[sgprSrdA+3], Srd127_96                 // Set bits 127_96 in SRD


/* global read addresses: addresses b */

/* max read offset = size[n] * stride[n-1] */
s_mul_hi_u32 s79, s[sgprWorkGroup1], 224           // WorkGroup[01] * MT
s_mul_i32 s78, s[sgprWorkGroup1], 224              // WorkGroup[01] * MT
s_mul_hi_u32 s79, s78, s[sgprStrideB1J]            // tlu=0, scaled tile-offset by stride
s_mul_i32 s78, s78, s[sgprStrideB1J]               // tlu=0, scaled tile-offset by stride
s_sub_u32 s[sgprShadowLimitB+0], s[sgprTensor2dSizeB], s78 // sub tileStart
s_subb_u32 s[sgprShadowLimitB+1], s[sgprTensor2dSizeB+1], s79 // sub tileStart
s_lshl_b64 s[sgprShadowLimitB:sgprShadowLimitB+1], s[sgprShadowLimitB:sgprShadowLimitB+1], 0x1 // Set limit to use bytes
s_add_u32 s[sgprShadowLimitB+0], s[sgprShadowLimitB+0], 8 // extend limit for pre-pad
s_addc_u32 s[sgprShadowLimitB+1], s[sgprShadowLimitB+1], 0 // extend limit for pre-pad
s_cmp_eq_u32 s[sgprShadowLimitB+1], 0              // are we within 2^32?
s_cselect_b32 s[sgprSrdB+2], s[sgprShadowLimitB+0], BufferLimitB // Move shadow to real if we are within 2^32
s_mul_hi_u32 s77, s[sgprStrideBK], s[sgprWorkGroup2] // Stride*WG
s_mul_i32 s76, s[sgprStrideBK], s[sgprWorkGroup2]  // Stride*WG
s_add_u32 s78, s78, s76                            // accum wg term to tilestart
s_addc_u32 s79, s79, s77                           // accum wg term to tilestart
s_lshl_b64 s[78:79], s[78:79], 0x1                 // tileStart *= BPE
s_add_u32 s[sgprSrdB+0], s[sgprSrdB+0], s78        // SRD base = Address+ tileStart0
s_addc_u32 s[sgprSrdB+1], s[sgprSrdB+1], s79       // SRD base = Address+ tileStart1
s_mov_b32 s[sgprSrdB+3], Srd127_96                 // Set bits 127_96 in SRD


/* global read addresses: increments a */

s_mul_i32 s[sgprGlobalReadIncsA+0], DepthU*BpeA, s[sgprStrideAL] // incrA unrollIdx)


/* global read addresses: increments b */

s_mov_b32 s[sgprGlobalReadIncsB+0], DepthU*BpeB    // incrB (unrollIdx)

/* declare loop num iterations */


s_lshr_b32 s[sgprLoopCounterL], s[sgprSizesSum+0], 6 // s[sgprLoopCounterL] = s[sgprSizesSum+0] / 64
s_mov_b32 s[sgprOrigLoopCounter], s[sgprLoopCounterL] // copy loop counter

s_and_b32 s[sgprStaggerUIter], s[sgprOrigStaggerUIter], s[sgprWorkGroup0] // Compute actual stagger start for this tile


/* SRDs += (StaggerUIter) * GlobalReadIncsA+0 */
s_mul_hi_u32 s77, s[sgprStaggerUIter], s[sgprGlobalReadIncsA+0] //  stagger byte offset
s_mul_i32 s76, s[sgprStaggerUIter], s[sgprGlobalReadIncsA+0] //  stagger byte offset
s_mul_hi_u32 s[sgprWrapUA+1], s[sgprLoopCounterL], s[sgprGlobalReadIncsA+0] // Number of bytes accessed by the unroll loop
s_mul_i32 s[sgprWrapUA+0], s[sgprLoopCounterL], s[sgprGlobalReadIncsA+0] // Number of bytes accessed by the unroll loop
s_sub_u32 s[sgprWrapUA+0], s[sgprGlobalReadIncsA+0], s[sgprWrapUA+0] // remove one iteration
s_subb_u32 s[sgprWrapUA+1], 0, s[sgprWrapUA+1]     // remove one iteration
s_add_u32 s[sgprSrdA+0], s[sgprSrdA+0], s76        // gra SRD += inc(lower)
s_addc_u32  s[sgprSrdA+1], s[sgprSrdA+1], s77      // gra SRD += inc(upper)
s_sub_u32 s[sgprShadowLimitA+0], s[sgprShadowLimitA+0], s76 // limit -= inc)
s_subb_u32 s[sgprShadowLimitA+1], s[sgprShadowLimitA+1], s77 // limit -= inc)
s_cmp_eq_u32 s[sgprShadowLimitA+1], 0              // are we within 2^32?
s_cselect_b32 s[sgprSrdA+2], s[sgprShadowLimitA+0], BufferLimitA // Move shadow to real if we are within 2^32


/* SRDs += (StaggerUIter) * GlobalReadIncsB+0 */
s_mul_hi_u32 s77, s[sgprStaggerUIter], s[sgprGlobalReadIncsB+0] //  stagger byte offset
s_mul_i32 s76, s[sgprStaggerUIter], s[sgprGlobalReadIncsB+0] //  stagger byte offset
s_mul_hi_u32 s[sgprWrapUB+1], s[sgprLoopCounterL], s[sgprGlobalReadIncsB+0] // Number of bytes accessed by the unroll loop
s_mul_i32 s[sgprWrapUB+0], s[sgprLoopCounterL], s[sgprGlobalReadIncsB+0] // Number of bytes accessed by the unroll loop
s_sub_u32 s[sgprWrapUB+0], s[sgprGlobalReadIncsB+0], s[sgprWrapUB+0] // remove one iteration
s_subb_u32 s[sgprWrapUB+1], 0, s[sgprWrapUB+1]     // remove one iteration
s_add_u32 s[sgprSrdB+0], s[sgprSrdB+0], s76        // gra SRD += inc(lower)
s_addc_u32  s[sgprSrdB+1], s[sgprSrdB+1], s77      // gra SRD += inc(upper)
s_sub_u32 s[sgprShadowLimitB+0], s[sgprShadowLimitB+0], s76 // limit -= inc)
s_subb_u32 s[sgprShadowLimitB+1], s[sgprShadowLimitB+1], s77 // limit -= inc)
s_cmp_eq_u32 s[sgprShadowLimitB+1], 0              // are we within 2^32?
s_cselect_b32 s[sgprSrdB+2], s[sgprShadowLimitB+0], BufferLimitB // Move shadow to real if we are within 2^32
s_add_u32 s[sgprStaggerUIter], s[sgprStaggerUIter], 2 // Subtract (PGR-1); StaggerUIter now contains target iteration to wrap

/* local read addresses: init pointers a */


/* localReadInitPointers */

/* local read addresses: init pointers b */


/* localReadInitPointers */


/* prefetch: global -> local */

s_cmp_eq_u32 s[sgprLoopCounterL], 0                // at last iteration?
s_setprio 0                                        // optimization store
s_cbranch_scc1 ShadowInitStart_10                  // skip to ShadowInitStart iter b/c numIter==0


_buffer_load_b128 v[vgprG2LA+0:vgprG2LA+0+3], v[vgprGlobalReadOffsetA+0], s[sgprSrdA:sgprSrdA+3], 0, offen offset:0 // G -> Reg 0_0_0_0
_buffer_load_b128 v[vgprG2LA+4:vgprG2LA+4+3], v[vgprGlobalReadOffsetA+0], s[sgprSrdA:sgprSrdA+3], s[sgprScalarGlobalReadOffsetA+0], offen offset:0 // G -> Reg 1_0_0_0
_buffer_load_b128 v[vgprG2LA+8:vgprG2LA+8+3], v[vgprGlobalReadOffsetA+0], s[sgprSrdA:sgprSrdA+3], s[sgprScalarGlobalReadOffsetA+1], offen offset:0 // G -> Reg 0_0_1_0
_buffer_load_b128 v[vgprG2LA+12:vgprG2LA+12+3], v[vgprGlobalReadOffsetA+0], s[sgprSrdA:sgprSrdA+3], s[sgprScalarGlobalReadOffsetA+2], offen offset:0 // G -> Reg 1_0_1_0
_buffer_load_b128 v[vgprG2LA+16:vgprG2LA+16+3], v[vgprGlobalReadOffsetA+0], s[sgprSrdA:sgprSrdA+3], s[sgprScalarGlobalReadOffsetA+3], offen offset:0 // G -> Reg 0_0_2_0
_buffer_load_b128 v[vgprG2LA+20:vgprG2LA+20+3], v[vgprGlobalReadOffsetA+0], s[sgprSrdA:sgprSrdA+3], s[sgprScalarGlobalReadOffsetA+4], offen offset:0 // G -> Reg 1_0_2_0
_buffer_load_b128 v[vgprG2LA+24:vgprG2LA+24+3], v[vgprGlobalReadOffsetA+0], s[sgprSrdA:sgprSrdA+3], s[sgprScalarGlobalReadOffsetA+5], offen offset:0 // G -> Reg 0_0_3_0
_buffer_load_b128 v[vgprG2LA+28:vgprG2LA+28+3], v[vgprGlobalReadOffsetA+0], s[sgprSrdA:sgprSrdA+3], s[sgprScalarGlobalReadOffsetA+6], offen offset:0 // G -> Reg 1_0_3_0


_buffer_load_b64 v[vgprG2LB+0:vgprG2LB+0+1], v[vgprGlobalReadOffsetB+0], s[sgprSrdB:sgprSrdB+3], 0, offen offset:0 // G -> Reg 0_0_0_0
_buffer_load_b64 v[vgprG2LB+2:vgprG2LB+2+1], v[vgprGlobalReadOffsetB+0], s[sgprSrdB:sgprSrdB+3], s[sgprScalarGlobalReadOffsetB+0], offen offset:0 // G -> Reg 0_0_1_0
_buffer_load_b64 v[vgprG2LB+4:vgprG2LB+4+1], v[vgprGlobalReadOffsetB+0], s[sgprSrdB:sgprSrdB+3], s[sgprScalarGlobalReadOffsetB+1], offen offset:0 // G -> Reg 0_0_2_0
_buffer_load_b64 v[vgprG2LB+6:vgprG2LB+6+1], v[vgprGlobalReadOffsetB+0], s[sgprSrdB:sgprSrdB+3], s[sgprScalarGlobalReadOffsetB+2], offen offset:0 // G -> Reg 0_0_3_0
_buffer_load_b64 v[vgprG2LB+8:vgprG2LB+8+1], v[vgprGlobalReadOffsetB+0], s[sgprSrdB:sgprSrdB+3], s[sgprScalarGlobalReadOffsetB+3], offen offset:0 // G -> Reg 0_0_4_0
_buffer_load_b64 v[vgprG2LB+10:vgprG2LB+10+1], v[vgprGlobalReadOffsetB+0], s[sgprSrdB:sgprSrdB+3], s[sgprScalarGlobalReadOffsetB+4], offen offset:0 // G -> Reg 0_0_5_0
_buffer_load_b64 v[vgprG2LB+12:vgprG2LB+12+1], v[vgprGlobalReadOffsetB+0], s[sgprSrdB:sgprSrdB+3], s[sgprScalarGlobalReadOffsetB+5], offen offset:0 // G -> Reg 0_0_6_0
_buffer_load_b64 v[vgprG2LB+14:vgprG2LB+14+1], v[vgprGlobalReadOffsetB+0], s[sgprSrdB:sgprSrdB+3], s[sgprScalarGlobalReadOffsetB+6], offen offset:0 // G -> Reg 0_0_7_0
_buffer_load_b64 v[vgprG2LB+16:vgprG2LB+16+1], v[vgprGlobalReadOffsetB+0], s[sgprSrdB:sgprSrdB+3], s[sgprScalarGlobalReadOffsetB+7], offen offset:0 // G -> Reg 0_0_8_0
_buffer_load_b64 v[vgprG2LB+18:vgprG2LB+18+1], v[vgprGlobalReadOffsetB+0], s[sgprSrdB:sgprSrdB+3], s[sgprScalarGlobalReadOffsetB+8], offen offset:0 // G -> Reg 0_0_9_0
_buffer_load_b64 v[vgprG2LB+20:vgprG2LB+20+1], v[vgprGlobalReadOffsetB+0], s[sgprSrdB:sgprSrdB+3], s[sgprScalarGlobalReadOffsetB+9], offen offset:0 // G -> Reg 0_0_10_0
_buffer_load_b64 v[vgprG2LB+22:vgprG2LB+22+1], v[vgprGlobalReadOffsetB+0], s[sgprSrdB:sgprSrdB+3], s[sgprScalarGlobalReadOffsetB+10], offen offset:0 // G -> Reg 0_0_11_0
_buffer_load_b64 v[vgprG2LB+24:vgprG2LB+24+1], v[vgprGlobalReadOffsetB+0], s[sgprSrdB:sgprSrdB+3], s[sgprScalarGlobalReadOffsetB+11], offen offset:0 // G -> Reg 0_0_12_0
_buffer_load_b64 v[vgprG2LB+26:vgprG2LB+26+1], v[vgprGlobalReadOffsetB+0], s[sgprSrdB:sgprSrdB+3], s[sgprScalarGlobalReadOffsetB+12], offen offset:0 // G -> Reg 0_0_13_0


/* global read inc A loopL */
s_add_u32 s78, s[sgprLoopCounterL], 1              // remove pf(1)
s_cmp_eq_u32 s[sgprStaggerUIter], s78              // Is this wrapIter? (pf)
s_cselect_b32 s76, s[sgprWrapUA+0], s[sgprGlobalReadIncsA+0] // incLower <- ?
s_cselect_b32 s77, s[sgprWrapUA+1], 0              // incUpper <- ?
s_add_u32 s[sgprSrdA+0], s[sgprSrdA+0], s76        // gra SRD += inc(lower)
s_addc_u32  s[sgprSrdA+1], s[sgprSrdA+1], s77      // gra SRD += inc(upper)
s_sub_u32 s[sgprShadowLimitA+0], s[sgprShadowLimitA+0], s76 // limit -= inc)
s_subb_u32 s[sgprShadowLimitA+1], s[sgprShadowLimitA+1], s77 // limit -= inc)
s_cmp_eq_u32 s[sgprShadowLimitA+1], 0              // are we within 2^32?
s_cselect_b32 s[sgprSrdA+2], s[sgprShadowLimitA+0], BufferLimitA // Move shadow to real if we are within 2^32

/* global read inc B loopL */
s_add_u32 s78, s[sgprLoopCounterL], 1              // remove pf(1)
s_cmp_eq_u32 s[sgprStaggerUIter], s78              // Is this wrapIter? (pf)
s_cselect_b32 s76, s[sgprWrapUB+0], s[sgprGlobalReadIncsB+0] // incLower <- ?
s_cselect_b32 s77, s[sgprWrapUB+1], 0              // incUpper <- ?
s_add_u32 s[sgprSrdB+0], s[sgprSrdB+0], s76        // gra SRD += inc(lower)
s_addc_u32  s[sgprSrdB+1], s[sgprSrdB+1], s77      // gra SRD += inc(upper)
s_sub_u32 s[sgprShadowLimitB+0], s[sgprShadowLimitB+0], s76 // limit -= inc)
s_subb_u32 s[sgprShadowLimitB+1], s[sgprShadowLimitB+1], s77 // limit -= inc)
s_cmp_eq_u32 s[sgprShadowLimitB+1], 0              // are we within 2^32?
s_cselect_b32 s[sgprSrdB+2], s[sgprShadowLimitB+0], BufferLimitB // Move shadow to real if we are within 2^32


/******************************************/
/* End setupNewTile, isPap=False             */
/******************************************/

ShadowInitStart_10: // 

s_mov_b32 s[sgprSrdD+2], BufferOOB                 // 
s_mov_b32 s[sgprSrdD+3], Srd127_96                 // Set bits 127_96 in post-loop SRD

s_mov_b32 s[sgprSrdC+2], BufferOOB                 // 
s_mov_b32 s[sgprSrdC+3], Srd127_96                 // Set bits 127_96 in post-loop SRD


s_mul_i32 s78, MT1, s[sgprWorkGroup1]              // <- wg1*MT1
s_mul_hi_u32 s77, s78, s[sgprStrideC1J]            // CScale s78 by Stride
s_mul_i32 s76, s78, s[sgprStrideC1J]               // CScale s78 by Stride
s_lshl_b64 s[76:77], s[76:77], 1                   // scale by bpe
s_add_u32 s[sgprSrdC+0], s[sgprSrdC+0], s76        // add lo to SRD
s_addc_u32 s[sgprSrdC+1], s[sgprSrdC+1], s77       // add hi to SRD
s_mul_hi_u32 s77, s78, s[sgprStrideD1J]            // Scale s78 by Stride
s_mul_i32 s76, s78, s[sgprStrideD1J]               // Scale s78 by Stride
s_lshl_b64 s[76:77], s[76:77], 1                   // scale by bpe
s_add_u32 s[sgprSrdD+0], s[sgprSrdD+0], s76        // add lo to SRD
s_addc_u32 s[sgprSrdD+1], s[sgprSrdD+1], s77       // add hi to SRD

s_mul_hi_u32 s77, s[sgprWorkGroup2], s[sgprStrideCK] // CScale s[sgprWorkGroup2] by Stride
s_mul_i32 s76, s[sgprWorkGroup2], s[sgprStrideCK]  // CScale s[sgprWorkGroup2] by Stride
s_lshl_b64 s[76:77], s[76:77], 1                   // scale by bpe
s_add_u32 s[sgprSrdC+0], s[sgprSrdC+0], s76        // add lo to SRD
s_addc_u32 s[sgprSrdC+1], s[sgprSrdC+1], s77       // add hi to SRD
s_mul_hi_u32 s77, s[sgprWorkGroup2], s[sgprStrideDK] // Scale s[sgprWorkGroup2] by Stride
s_mul_i32 s76, s[sgprWorkGroup2], s[sgprStrideDK]  // Scale s[sgprWorkGroup2] by Stride
s_lshl_b64 s[76:77], s[76:77], 1                   // scale by bpe
s_add_u32 s[sgprSrdD+0], s[sgprSrdD+0], s76        // add lo to SRD
s_addc_u32 s[sgprSrdD+1], s[sgprSrdD+1], s77       // add hi to SRD



/* initC: remove C-tile 0-0 from pool */

/* initC: remove AB-tile 0-176 from pool */
v_accvgpr_write acc0, 0x0                          // initC
v_accvgpr_write acc1, 0x0                          // initC
v_accvgpr_write acc2, 0x0                          // initC
v_accvgpr_write acc3, 0x0                          // initC
v_accvgpr_write acc4, 0x0                          // initC
v_accvgpr_write acc5, 0x0                          // initC
v_accvgpr_write acc6, 0x0                          // initC
v_accvgpr_write acc7, 0x0                          // initC
v_accvgpr_write acc8, 0x0                          // initC
v_accvgpr_write acc9, 0x0                          // initC
v_accvgpr_write acc10, 0x0                         // initC
v_accvgpr_write acc11, 0x0                         // initC
v_accvgpr_write acc12, 0x0                         // initC
v_accvgpr_write acc13, 0x0                         // initC
v_accvgpr_write acc14, 0x0                         // initC
v_accvgpr_write acc15, 0x0                         // initC
v_accvgpr_write acc16, 0x0                         // initC
v_accvgpr_write acc17, 0x0                         // initC
v_accvgpr_write acc18, 0x0                         // initC
v_accvgpr_write acc19, 0x0                         // initC
v_accvgpr_write acc20, 0x0                         // initC
v_accvgpr_write acc21, 0x0                         // initC
v_accvgpr_write acc22, 0x0                         // initC
v_accvgpr_write acc23, 0x0                         // initC
v_accvgpr_write acc24, 0x0                         // initC
v_accvgpr_write acc25, 0x0                         // initC
v_accvgpr_write acc26, 0x0                         // initC
v_accvgpr_write acc27, 0x0                         // initC
v_accvgpr_write acc28, 0x0                         // initC
v_accvgpr_write acc29, 0x0                         // initC
v_accvgpr_write acc30, 0x0                         // initC
v_accvgpr_write acc31, 0x0                         // initC
v_accvgpr_write acc32, 0x0                         // initC
v_accvgpr_write acc33, 0x0                         // initC
v_accvgpr_write acc34, 0x0                         // initC
v_accvgpr_write acc35, 0x0                         // initC
v_accvgpr_write acc36, 0x0                         // initC
v_accvgpr_write acc37, 0x0                         // initC
v_accvgpr_write acc38, 0x0                         // initC
v_accvgpr_write acc39, 0x0                         // initC
v_accvgpr_write acc40, 0x0                         // initC
v_accvgpr_write acc41, 0x0                         // initC
v_accvgpr_write acc42, 0x0                         // initC
v_accvgpr_write acc43, 0x0                         // initC
v_accvgpr_write acc44, 0x0                         // initC
v_accvgpr_write acc45, 0x0                         // initC
v_accvgpr_write acc46, 0x0                         // initC
v_accvgpr_write acc47, 0x0                         // initC
v_accvgpr_write acc48, 0x0                         // initC
v_accvgpr_write acc49, 0x0                         // initC
v_accvgpr_write acc50, 0x0                         // initC
v_accvgpr_write acc51, 0x0                         // initC
v_accvgpr_write acc52, 0x0                         // initC
v_accvgpr_write acc53, 0x0                         // initC
v_accvgpr_write acc54, 0x0                         // initC
v_accvgpr_write acc55, 0x0                         // initC
v_accvgpr_write acc56, 0x0                         // initC
v_accvgpr_write acc57, 0x0                         // initC
v_accvgpr_write acc58, 0x0                         // initC
v_accvgpr_write acc59, 0x0                         // initC
v_accvgpr_write acc60, 0x0                         // initC
v_accvgpr_write acc61, 0x0                         // initC
v_accvgpr_write acc62, 0x0                         // initC
v_accvgpr_write acc63, 0x0                         // initC
v_accvgpr_write acc64, 0x0                         // initC
v_accvgpr_write acc65, 0x0                         // initC
v_accvgpr_write acc66, 0x0                         // initC
v_accvgpr_write acc67, 0x0                         // initC
v_accvgpr_write acc68, 0x0                         // initC
v_accvgpr_write acc69, 0x0                         // initC
v_accvgpr_write acc70, 0x0                         // initC
v_accvgpr_write acc71, 0x0                         // initC
v_accvgpr_write acc72, 0x0                         // initC
v_accvgpr_write acc73, 0x0                         // initC
v_accvgpr_write acc74, 0x0                         // initC
v_accvgpr_write acc75, 0x0                         // initC
v_accvgpr_write acc76, 0x0                         // initC
v_accvgpr_write acc77, 0x0                         // initC
v_accvgpr_write acc78, 0x0                         // initC
v_accvgpr_write acc79, 0x0                         // initC
v_accvgpr_write acc80, 0x0                         // initC
v_accvgpr_write acc81, 0x0                         // initC
v_accvgpr_write acc82, 0x0                         // initC
v_accvgpr_write acc83, 0x0                         // initC
v_accvgpr_write acc84, 0x0                         // initC
v_accvgpr_write acc85, 0x0                         // initC
v_accvgpr_write acc86, 0x0                         // initC
v_accvgpr_write acc87, 0x0                         // initC
v_accvgpr_write acc88, 0x0                         // initC
v_accvgpr_write acc89, 0x0                         // initC
v_accvgpr_write acc90, 0x0                         // initC
v_accvgpr_write acc91, 0x0                         // initC
v_accvgpr_write acc92, 0x0                         // initC
v_accvgpr_write acc93, 0x0                         // initC
v_accvgpr_write acc94, 0x0                         // initC
v_accvgpr_write acc95, 0x0                         // initC
v_accvgpr_write acc96, 0x0                         // initC
v_accvgpr_write acc97, 0x0                         // initC
v_accvgpr_write acc98, 0x0                         // initC
v_accvgpr_write acc99, 0x0                         // initC
v_accvgpr_write acc100, 0x0                        // initC
v_accvgpr_write acc101, 0x0                        // initC
v_accvgpr_write acc102, 0x0                        // initC
v_accvgpr_write acc103, 0x0                        // initC
v_accvgpr_write acc104, 0x0                        // initC
v_accvgpr_write acc105, 0x0                        // initC
v_accvgpr_write acc106, 0x0                        // initC
v_accvgpr_write acc107, 0x0                        // initC
v_accvgpr_write acc108, 0x0                        // initC
v_accvgpr_write acc109, 0x0                        // initC
v_accvgpr_write acc110, 0x0                        // initC
v_accvgpr_write acc111, 0x0                        // initC
v_accvgpr_write acc112, 0x0                        // initC
v_accvgpr_write acc113, 0x0                        // initC
v_accvgpr_write acc114, 0x0                        // initC
v_accvgpr_write acc115, 0x0                        // initC
v_accvgpr_write acc116, 0x0                        // initC
v_accvgpr_write acc117, 0x0                        // initC
v_accvgpr_write acc118, 0x0                        // initC
v_accvgpr_write acc119, 0x0                        // initC
v_accvgpr_write acc120, 0x0                        // initC
v_accvgpr_write acc121, 0x0                        // initC
v_accvgpr_write acc122, 0x0                        // initC
v_accvgpr_write acc123, 0x0                        // initC
v_accvgpr_write acc124, 0x0                        // initC
v_accvgpr_write acc125, 0x0                        // initC
v_accvgpr_write acc126, 0x0                        // initC
v_accvgpr_write acc127, 0x0                        // initC
v_accvgpr_write acc128, 0x0                        // initC
v_accvgpr_write acc129, 0x0                        // initC
v_accvgpr_write acc130, 0x0                        // initC
v_accvgpr_write acc131, 0x0                        // initC
v_accvgpr_write acc132, 0x0                        // initC
v_accvgpr_write acc133, 0x0                        // initC
v_accvgpr_write acc134, 0x0                        // initC
v_accvgpr_write acc135, 0x0                        // initC
v_accvgpr_write acc136, 0x0                        // initC
v_accvgpr_write acc137, 0x0                        // initC
v_accvgpr_write acc138, 0x0                        // initC
v_accvgpr_write acc139, 0x0                        // initC
v_accvgpr_write acc140, 0x0                        // initC
v_accvgpr_write acc141, 0x0                        // initC
v_accvgpr_write acc142, 0x0                        // initC
v_accvgpr_write acc143, 0x0                        // initC
v_accvgpr_write acc144, 0x0                        // initC
v_accvgpr_write acc145, 0x0                        // initC
v_accvgpr_write acc146, 0x0                        // initC
v_accvgpr_write acc147, 0x0                        // initC
v_accvgpr_write acc148, 0x0                        // initC
v_accvgpr_write acc149, 0x0                        // initC
v_accvgpr_write acc150, 0x0                        // initC
v_accvgpr_write acc151, 0x0                        // initC
v_accvgpr_write acc152, 0x0                        // initC
v_accvgpr_write acc153, 0x0                        // initC
v_accvgpr_write acc154, 0x0                        // initC
v_accvgpr_write acc155, 0x0                        // initC
v_accvgpr_write acc156, 0x0                        // initC
v_accvgpr_write acc157, 0x0                        // initC
v_accvgpr_write acc158, 0x0                        // initC
v_accvgpr_write acc159, 0x0                        // initC
v_accvgpr_write acc160, 0x0                        // initC
v_accvgpr_write acc161, 0x0                        // initC
v_accvgpr_write acc162, 0x0                        // initC
v_accvgpr_write acc163, 0x0                        // initC
v_accvgpr_write acc164, 0x0                        // initC
v_accvgpr_write acc165, 0x0                        // initC
v_accvgpr_write acc166, 0x0                        // initC
v_accvgpr_write acc167, 0x0                        // initC
v_accvgpr_write acc168, 0x0                        // initC
v_accvgpr_write acc169, 0x0                        // initC
v_accvgpr_write acc170, 0x0                        // initC
v_accvgpr_write acc171, 0x0                        // initC
v_accvgpr_write acc172, 0x0                        // initC
v_accvgpr_write acc173, 0x0                        // initC
v_accvgpr_write acc174, 0x0                        // initC
v_accvgpr_write acc175, 0x0                        // initC
v_accvgpr_write acc176, 0x0                        // initC
v_accvgpr_write acc177, 0x0                        // initC
v_accvgpr_write acc178, 0x0                        // initC
v_accvgpr_write acc179, 0x0                        // initC
v_accvgpr_write acc180, 0x0                        // initC
v_accvgpr_write acc181, 0x0                        // initC
v_accvgpr_write acc182, 0x0                        // initC
v_accvgpr_write acc183, 0x0                        // initC
v_accvgpr_write acc184, 0x0                        // initC
v_accvgpr_write acc185, 0x0                        // initC
v_accvgpr_write acc186, 0x0                        // initC
v_accvgpr_write acc187, 0x0                        // initC
v_accvgpr_write acc188, 0x0                        // initC
v_accvgpr_write acc189, 0x0                        // initC
v_accvgpr_write acc190, 0x0                        // initC
v_accvgpr_write acc191, 0x0                        // initC
v_accvgpr_write acc192, 0x0                        // initC
v_accvgpr_write acc193, 0x0                        // initC
v_accvgpr_write acc194, 0x0                        // initC
v_accvgpr_write acc195, 0x0                        // initC
v_accvgpr_write acc196, 0x0                        // initC
v_accvgpr_write acc197, 0x0                        // initC
v_accvgpr_write acc198, 0x0                        // initC
v_accvgpr_write acc199, 0x0                        // initC
v_accvgpr_write acc200, 0x0                        // initC
v_accvgpr_write acc201, 0x0                        // initC
v_accvgpr_write acc202, 0x0                        // initC
v_accvgpr_write acc203, 0x0                        // initC
v_accvgpr_write acc204, 0x0                        // initC
v_accvgpr_write acc205, 0x0                        // initC
v_accvgpr_write acc206, 0x0                        // initC
v_accvgpr_write acc207, 0x0                        // initC
v_accvgpr_write acc208, 0x0                        // initC
v_accvgpr_write acc209, 0x0                        // initC
v_accvgpr_write acc210, 0x0                        // initC
v_accvgpr_write acc211, 0x0                        // initC
v_accvgpr_write acc212, 0x0                        // initC
v_accvgpr_write acc213, 0x0                        // initC
v_accvgpr_write acc214, 0x0                        // initC
v_accvgpr_write acc215, 0x0                        // initC
v_accvgpr_write acc216, 0x0                        // initC
v_accvgpr_write acc217, 0x0                        // initC
v_accvgpr_write acc218, 0x0                        // initC
v_accvgpr_write acc219, 0x0                        // initC
v_accvgpr_write acc220, 0x0                        // initC
v_accvgpr_write acc221, 0x0                        // initC
v_accvgpr_write acc222, 0x0                        // initC
v_accvgpr_write acc223, 0x0                        // initC

s_cmp_eq_u32 s[sgprLoopCounterL], 0                // at last iteration?

/* after InitC, skip to end of prefetch last iter if numIter==0 */
s_cbranch_scc0 label_NoBranch_11                   // Only branch on scc1
s_getpc_B64 s[76:77]                               // addr of next instr
s_add_i32 s78, PrefetchGlobalLastIterEnd_5, 0x4    // target branch offset
s_add_u32 s76, s76, s78                            // add target branch offset
s_addc_u32 s77, s77, 0                             // add high and carry
s_setpc_b64 s[76:77]                               // branch to PrefetchGlobalLastIterEnd_5
label_NoBranch_11:

s_waitcnt vmcnt(0)                                 // lgkmcnt=-1 vmcnt=0 8wait for global read


/* local write a */
_ds_store_b128 v[vgprLocalWriteAddrA], v[vgprG2LA+0:vgprG2LA+0+3] offset:0 // lwoA_0_0_0_0 = (0*LSCA) + (0*LSPA)(*MT0I+PAD) = 0
_ds_store_b128 v[vgprLocalWriteAddrA], v[vgprG2LA+4:vgprG2LA+4+3] offset:256 // lwoA_1_0_0_0 = (1*LSCA) + (0*LSPA)(*MT0I+PAD) = 256
_ds_store_b128 v[vgprLocalWriteAddrA], v[vgprG2LA+8:vgprG2LA+8+3] offset:8192 // lwoA_0_0_1_0 = (0*LSCA) + (1*LSPA)(*MT0I+PAD) = 8192
_ds_store_b128 v[vgprLocalWriteAddrA], v[vgprG2LA+12:vgprG2LA+12+3] offset:8448 // lwoA_1_0_1_0 = (1*LSCA) + (1*LSPA)(*MT0I+PAD) = 8448
_ds_store_b128 v[vgprLocalWriteAddrA], v[vgprG2LA+16:vgprG2LA+16+3] offset:16384 // lwoA_0_0_2_0 = (0*LSCA) + (2*LSPA)(*MT0I+PAD) = 16384
_ds_store_b128 v[vgprLocalWriteAddrA], v[vgprG2LA+20:vgprG2LA+20+3] offset:16640 // lwoA_1_0_2_0 = (1*LSCA) + (2*LSPA)(*MT0I+PAD) = 16640
_ds_store_b128 v[vgprLocalWriteAddrA], v[vgprG2LA+24:vgprG2LA+24+3] offset:24576 // lwoA_0_0_3_0 = (0*LSCA) + (3*LSPA)(*MT0I+PAD) = 24576
_ds_store_b128 v[vgprLocalWriteAddrA], v[vgprG2LA+28:vgprG2LA+28+3] offset:24832 // lwoA_1_0_3_0 = (1*LSCA) + (3*LSPA)(*MT0I+PAD) = 24832

/* local write b */
_ds_store_b64 v[vgprLocalWriteAddrB], v[vgprG2LB+0:vgprG2LB+0+1] offset:0 // lwoB_0_0_0_0 = (0*LSCB)*(MT1J+PAD) + (0*LSPB) = 0
_ds_store_b64 v[vgprLocalWriteAddrB], v[vgprG2LB+2:vgprG2LB+2+1] offset:2176 // lwoB_0_0_1_0 = (0*LSCB)*(MT1J+PAD) + (1*LSPB) = 2176
_ds_store_b64 v[vgprLocalWriteAddrB], v[vgprG2LB+4:vgprG2LB+4+1] offset:4352 // lwoB_0_0_2_0 = (0*LSCB)*(MT1J+PAD) + (2*LSPB) = 4352
_ds_store_b64 v[vgprLocalWriteAddrB], v[vgprG2LB+6:vgprG2LB+6+1] offset:6528 // lwoB_0_0_3_0 = (0*LSCB)*(MT1J+PAD) + (3*LSPB) = 6528
_ds_store_b64 v[vgprLocalWriteAddrB], v[vgprG2LB+8:vgprG2LB+8+1] offset:8704 // lwoB_0_0_4_0 = (0*LSCB)*(MT1J+PAD) + (4*LSPB) = 8704
_ds_store_b64 v[vgprLocalWriteAddrB], v[vgprG2LB+10:vgprG2LB+10+1] offset:10880 // lwoB_0_0_5_0 = (0*LSCB)*(MT1J+PAD) + (5*LSPB) = 10880
_ds_store_b64 v[vgprLocalWriteAddrB], v[vgprG2LB+12:vgprG2LB+12+1] offset:13056 // lwoB_0_0_6_0 = (0*LSCB)*(MT1J+PAD) + (6*LSPB) = 13056
_ds_store_b64 v[vgprLocalWriteAddrB], v[vgprG2LB+14:vgprG2LB+14+1] offset:15232 // lwoB_0_0_7_0 = (0*LSCB)*(MT1J+PAD) + (7*LSPB) = 15232
_ds_store_b64 v[vgprLocalWriteAddrB], v[vgprG2LB+16:vgprG2LB+16+1] offset:17408 // lwoB_0_0_8_0 = (0*LSCB)*(MT1J+PAD) + (8*LSPB) = 17408
_ds_store_b64 v[vgprLocalWriteAddrB], v[vgprG2LB+18:vgprG2LB+18+1] offset:19584 // lwoB_0_0_9_0 = (0*LSCB)*(MT1J+PAD) + (9*LSPB) = 19584
_ds_store_b64 v[vgprLocalWriteAddrB], v[vgprG2LB+20:vgprG2LB+20+1] offset:21760 // lwoB_0_0_10_0 = (0*LSCB)*(MT1J+PAD) + (10*LSPB) = 21760
_ds_store_b64 v[vgprLocalWriteAddrB], v[vgprG2LB+22:vgprG2LB+22+1] offset:23936 // lwoB_0_0_11_0 = (0*LSCB)*(MT1J+PAD) + (11*LSPB) = 23936
_ds_store_b64 v[vgprLocalWriteAddrB], v[vgprG2LB+24:vgprG2LB+24+1] offset:26112 // lwoB_0_0_12_0 = (0*LSCB)*(MT1J+PAD) + (12*LSPB) = 26112
_ds_store_b64 v[vgprLocalWriteAddrB], v[vgprG2LB+26:vgprG2LB+26+1] offset:28288 // lwoB_0_0_13_0 = (0*LSCB)*(MT1J+PAD) + (13*LSPB) = 28288


/* local write swap a */


	;; [unrolled: 1-line block ×3, first 2 shown]
/* local write swap b */


	;; [unrolled: 1-line block ×4, first 2 shown]
s_cmp_eq_u32 s[sgprLoopCounterL] 0x1               // PGR=2 but only 1 loop
s_cbranch_scc1 label_0012                          // PGR=2 but only 1 loop


_buffer_load_b128 v[vgprG2LA+0:vgprG2LA+0+3], v[vgprGlobalReadOffsetA+0], s[sgprSrdA:sgprSrdA+3], 0, offen offset:0 // G -> Reg 0_0_0_0
_buffer_load_b128 v[vgprG2LA+4:vgprG2LA+4+3], v[vgprGlobalReadOffsetA+0], s[sgprSrdA:sgprSrdA+3], s[sgprScalarGlobalReadOffsetA+0], offen offset:0 // G -> Reg 1_0_0_0
_buffer_load_b128 v[vgprG2LA+8:vgprG2LA+8+3], v[vgprGlobalReadOffsetA+0], s[sgprSrdA:sgprSrdA+3], s[sgprScalarGlobalReadOffsetA+1], offen offset:0 // G -> Reg 0_0_1_0
_buffer_load_b128 v[vgprG2LA+12:vgprG2LA+12+3], v[vgprGlobalReadOffsetA+0], s[sgprSrdA:sgprSrdA+3], s[sgprScalarGlobalReadOffsetA+2], offen offset:0 // G -> Reg 1_0_1_0
_buffer_load_b128 v[vgprG2LA+16:vgprG2LA+16+3], v[vgprGlobalReadOffsetA+0], s[sgprSrdA:sgprSrdA+3], s[sgprScalarGlobalReadOffsetA+3], offen offset:0 // G -> Reg 0_0_2_0
_buffer_load_b128 v[vgprG2LA+20:vgprG2LA+20+3], v[vgprGlobalReadOffsetA+0], s[sgprSrdA:sgprSrdA+3], s[sgprScalarGlobalReadOffsetA+4], offen offset:0 // G -> Reg 1_0_2_0
_buffer_load_b128 v[vgprG2LA+24:vgprG2LA+24+3], v[vgprGlobalReadOffsetA+0], s[sgprSrdA:sgprSrdA+3], s[sgprScalarGlobalReadOffsetA+5], offen offset:0 // G -> Reg 0_0_3_0
_buffer_load_b128 v[vgprG2LA+28:vgprG2LA+28+3], v[vgprGlobalReadOffsetA+0], s[sgprSrdA:sgprSrdA+3], s[sgprScalarGlobalReadOffsetA+6], offen offset:0 // G -> Reg 1_0_3_0


_buffer_load_b64 v[vgprG2LB+0:vgprG2LB+0+1], v[vgprGlobalReadOffsetB+0], s[sgprSrdB:sgprSrdB+3], 0, offen offset:0 // G -> Reg 0_0_0_0
_buffer_load_b64 v[vgprG2LB+2:vgprG2LB+2+1], v[vgprGlobalReadOffsetB+0], s[sgprSrdB:sgprSrdB+3], s[sgprScalarGlobalReadOffsetB+0], offen offset:0 // G -> Reg 0_0_1_0
_buffer_load_b64 v[vgprG2LB+4:vgprG2LB+4+1], v[vgprGlobalReadOffsetB+0], s[sgprSrdB:sgprSrdB+3], s[sgprScalarGlobalReadOffsetB+1], offen offset:0 // G -> Reg 0_0_2_0
_buffer_load_b64 v[vgprG2LB+6:vgprG2LB+6+1], v[vgprGlobalReadOffsetB+0], s[sgprSrdB:sgprSrdB+3], s[sgprScalarGlobalReadOffsetB+2], offen offset:0 // G -> Reg 0_0_3_0
_buffer_load_b64 v[vgprG2LB+8:vgprG2LB+8+1], v[vgprGlobalReadOffsetB+0], s[sgprSrdB:sgprSrdB+3], s[sgprScalarGlobalReadOffsetB+3], offen offset:0 // G -> Reg 0_0_4_0
_buffer_load_b64 v[vgprG2LB+10:vgprG2LB+10+1], v[vgprGlobalReadOffsetB+0], s[sgprSrdB:sgprSrdB+3], s[sgprScalarGlobalReadOffsetB+4], offen offset:0 // G -> Reg 0_0_5_0
_buffer_load_b64 v[vgprG2LB+12:vgprG2LB+12+1], v[vgprGlobalReadOffsetB+0], s[sgprSrdB:sgprSrdB+3], s[sgprScalarGlobalReadOffsetB+5], offen offset:0 // G -> Reg 0_0_6_0
_buffer_load_b64 v[vgprG2LB+14:vgprG2LB+14+1], v[vgprGlobalReadOffsetB+0], s[sgprSrdB:sgprSrdB+3], s[sgprScalarGlobalReadOffsetB+6], offen offset:0 // G -> Reg 0_0_7_0
_buffer_load_b64 v[vgprG2LB+16:vgprG2LB+16+1], v[vgprGlobalReadOffsetB+0], s[sgprSrdB:sgprSrdB+3], s[sgprScalarGlobalReadOffsetB+7], offen offset:0 // G -> Reg 0_0_8_0
_buffer_load_b64 v[vgprG2LB+18:vgprG2LB+18+1], v[vgprGlobalReadOffsetB+0], s[sgprSrdB:sgprSrdB+3], s[sgprScalarGlobalReadOffsetB+8], offen offset:0 // G -> Reg 0_0_9_0
_buffer_load_b64 v[vgprG2LB+20:vgprG2LB+20+1], v[vgprGlobalReadOffsetB+0], s[sgprSrdB:sgprSrdB+3], s[sgprScalarGlobalReadOffsetB+9], offen offset:0 // G -> Reg 0_0_10_0
_buffer_load_b64 v[vgprG2LB+22:vgprG2LB+22+1], v[vgprGlobalReadOffsetB+0], s[sgprSrdB:sgprSrdB+3], s[sgprScalarGlobalReadOffsetB+10], offen offset:0 // G -> Reg 0_0_11_0
_buffer_load_b64 v[vgprG2LB+24:vgprG2LB+24+1], v[vgprGlobalReadOffsetB+0], s[sgprSrdB:sgprSrdB+3], s[sgprScalarGlobalReadOffsetB+11], offen offset:0 // G -> Reg 0_0_12_0
_buffer_load_b64 v[vgprG2LB+26:vgprG2LB+26+1], v[vgprGlobalReadOffsetB+0], s[sgprSrdB:sgprSrdB+3], s[sgprScalarGlobalReadOffsetB+12], offen offset:0 // G -> Reg 0_0_13_0

label_0012:                                        // 

s_waitcnt lgkmcnt(0)                               // lgkmcnt=0 vmcnt=-10prefetch wait for local write

// Skip force waitcnt0
s_barrier //


/* local read prefetch a */

_ds_load_u16 v[vgprValuA_X0_I0+0], v[vgprLocalReadAddrA] offset:0 // L -> Reg lro=0 swapByteOffset=0 ti=256 vIdx=0 rIdx=0 oIdx=0 buffer=0 iui=0
_ds_load_u16_d16_hi v[vgprValuA_X0_I0_D1+0], v[vgprLocalReadAddrA] offset:512 // L -> Reg lro=0 swapByteOffset=0 ti=256 vIdx=0 rIdx=1 oIdx=0 buffer=0 iui=0
_ds_load_u16 v[vgprValuA_X0_I0+1], v[vgprLocalReadAddrA] offset:1024 // L -> Reg lro=0 swapByteOffset=0 ti=256 vIdx=0 rIdx=2 oIdx=0 buffer=0 iui=0
_ds_load_u16_d16_hi v[vgprValuA_X0_I0_D1+1], v[vgprLocalReadAddrA] offset:1536 // L -> Reg lro=0 swapByteOffset=0 ti=256 vIdx=0 rIdx=3 oIdx=0 buffer=0 iui=0
_ds_load_u16 v[vgprValuA_X0_I0+2], v[vgprLocalReadAddrA] offset:2 // L -> Reg lro=0 swapByteOffset=0 ti=256 vIdx=0 rIdx=0 oIdx=0 buffer=0 iui=0
_ds_load_u16_d16_hi v[vgprValuA_X0_I0_D1+2], v[vgprLocalReadAddrA] offset:514 // L -> Reg lro=0 swapByteOffset=0 ti=256 vIdx=0 rIdx=1 oIdx=0 buffer=0 iui=0
_ds_load_u16 v[vgprValuA_X0_I0+3], v[vgprLocalReadAddrA] offset:1026 // L -> Reg lro=0 swapByteOffset=0 ti=256 vIdx=0 rIdx=2 oIdx=0 buffer=0 iui=0
_ds_load_u16_d16_hi v[vgprValuA_X0_I0_D1+3], v[vgprLocalReadAddrA] offset:1538 // L -> Reg lro=0 swapByteOffset=0 ti=256 vIdx=0 rIdx=3 oIdx=0 buffer=0 iui=0
_ds_load_u16 v[vgprValuA_X0_I0+4], v[vgprLocalReadAddrA] offset:4 // L -> Reg lro=0 swapByteOffset=0 ti=256 vIdx=0 rIdx=0 oIdx=0 buffer=0 iui=0
_ds_load_u16_d16_hi v[vgprValuA_X0_I0_D1+4], v[vgprLocalReadAddrA] offset:516 // L -> Reg lro=0 swapByteOffset=0 ti=256 vIdx=0 rIdx=1 oIdx=0 buffer=0 iui=0
_ds_load_u16 v[vgprValuA_X0_I0+5], v[vgprLocalReadAddrA] offset:1028 // L -> Reg lro=0 swapByteOffset=0 ti=256 vIdx=0 rIdx=2 oIdx=0 buffer=0 iui=0
_ds_load_u16_d16_hi v[vgprValuA_X0_I0_D1+5], v[vgprLocalReadAddrA] offset:1540 // L -> Reg lro=0 swapByteOffset=0 ti=256 vIdx=0 rIdx=3 oIdx=0 buffer=0 iui=0
_ds_load_u16 v[vgprValuA_X0_I0+6], v[vgprLocalReadAddrA] offset:6 // L -> Reg lro=0 swapByteOffset=0 ti=256 vIdx=0 rIdx=0 oIdx=0 buffer=0 iui=0
_ds_load_u16_d16_hi v[vgprValuA_X0_I0_D1+6], v[vgprLocalReadAddrA] offset:518 // L -> Reg lro=0 swapByteOffset=0 ti=256 vIdx=0 rIdx=1 oIdx=0 buffer=0 iui=0
_ds_load_u16 v[vgprValuA_X0_I0+7], v[vgprLocalReadAddrA] offset:1030 // L -> Reg lro=0 swapByteOffset=0 ti=256 vIdx=0 rIdx=2 oIdx=0 buffer=0 iui=0
_ds_load_u16_d16_hi v[vgprValuA_X0_I0_D1+7], v[vgprLocalReadAddrA] offset:1542 // L -> Reg lro=0 swapByteOffset=0 ti=256 vIdx=0 rIdx=3 oIdx=0 buffer=0 iui=0


/* local read prefetch b */

_ds_load_b64 v[vgprValuB_X0_I0+0:vgprValuB_X0_I0+0+1], v[vgprLocalReadAddrB] offset:0 // L -> Reg lro=0 swapByteOffset=0 ti=16 vIdx=0 rIdx=0 oIdx=0 buffer=0 iui=0
_ds_load_b64 v[vgprValuB_X0_I0+2:vgprValuB_X0_I0+2+1], v[vgprLocalReadAddrB] offset:2176 // L -> Reg lro=0 swapByteOffset=0 ti=16 vIdx=1 rIdx=0 oIdx=0 buffer=0 iui=0
	;; [unrolled: 1-line block ×14, first 2 shown]


/* local read inc a */

/* N/A, lro->4096 */
/* self.localReadDoCntA 1 self.localReadDoCntB 1 */


/* local read inc b */

/* N/A, lro->16 */
/* self.localReadDoCntA 1 self.localReadDoCntB 1 */


	;; [unrolled: 1-line block ×3, first 2 shown]
/******************************************/
/* Unrolled Loop(s) - Begin               */
/******************************************/

openLoopL_13:
s_cmp_eq_u32 s[sgprLoopCounterL], 0x1              // LoopCounterL < EndCounter
s_cbranch_scc1 label_0014                          // PGR=2 but only 1 loop, toPGR1
s_cmp_le_u32 s[sgprLoopCounterL], 0x2              // LoopCounterL < EndCounter
s_cbranch_scc1 LoopEndL_evenexit_4                 // do not enter LoopL
LoopBeginL_1:


/******************************************/
/* Unrolled Loop 1/2 - Begin              */
/******************************************/

label_0015: // LoopCopy1 


/* Begin Each Unroll: Check VGPR.checkin for INT8 LW */


	;; [unrolled: 1-line block ×3, first 2 shown]
/* iter 0 */

/*  grEndMfmaIndex:18, lwStartMfmaIndex:98, lwEndMfmaIndex:183  */
/*  numMfmaForLR:35, barrierMfmaIndex:188, LocalWritePerMfma:0.250 */
/*  mfmaIndex:0  */
s_waitcnt lgkmcnt(0)                               // lgkmcnt=0 vmcnt=-1wait for prior local read local write old=0, new=0 newLW=0 newLR=0
/* pack scheduling: packAIdx:2, packBIdx:0 */
v_or_b32 v[vgprValuA_X0_I0+0], v[vgprValuA_X0_I0+0], v[vgprValuA_X0_I0_D1+0] // pack two half Vgpr to one Vgpr
v_or_b32 v[vgprValuA_X0_I0+1], v[vgprValuA_X0_I0+1], v[vgprValuA_X0_I0_D1+1] // pack two half Vgpr to one Vgpr
	;; [unrolled: 1-line block ×4, first 2 shown]
v_mfma_f32_16x16x16_bf16 a[0+0:3+0], v[vgprValuB_X0_I0+0+0+0:vgprValuB_X0_I0+0+0+0+1], v[vgprValuA_X0_I0+0+0+0:vgprValuA_X0_I0+0+0+0+1], a[0:3]
/*  mfmaIndex:1  */
_ds_load_u16 v[vgprValuA_X1_I0+0], v[vgprLocalReadAddrA] offset:8192 // L -> Reg lro=4096 swapByteOffset=0 ti=256 vIdx=0 rIdx=0 oIdx=0 buffer=1 iui=0

/* global read inc A loopL */
s_cmp_eq_u32 s[sgprLoopCounterL], s[sgprStaggerUIter] // Is this the wrapIter?
/* pack scheduling: packAIdx:4, packBIdx:0 */
v_or_b32 v[vgprValuA_X0_I0+4], v[vgprValuA_X0_I0+4], v[vgprValuA_X0_I0_D1+4] // pack two half Vgpr to one Vgpr
v_or_b32 v[vgprValuA_X0_I0+5], v[vgprValuA_X0_I0+5], v[vgprValuA_X0_I0_D1+5] // pack two half Vgpr to one Vgpr
v_mfma_f32_16x16x16_bf16 a[4+0:7+0], v[vgprValuB_X0_I0+0+0+0:vgprValuB_X0_I0+0+0+0+1], v[vgprValuA_X0_I0+2+0+0:vgprValuA_X0_I0+2+0+0+1], a[4:7]
/*  mfmaIndex:2  */
_ds_load_u16_d16_hi v[vgprValuA_X1_I0_D1+0], v[vgprLocalReadAddrA] offset:8704 // L -> Reg lro=4096 swapByteOffset=0 ti=256 vIdx=0 rIdx=1 oIdx=0 buffer=1 iui=0
s_cselect_b32 s76, s[sgprWrapUA+0], s[sgprGlobalReadIncsA+0] // incLower <- ?
/* pack scheduling: packAIdx:6, packBIdx:0 */
v_or_b32 v[vgprValuA_X0_I0+6], v[vgprValuA_X0_I0+6], v[vgprValuA_X0_I0_D1+6] // pack two half Vgpr to one Vgpr
v_or_b32 v[vgprValuA_X0_I0+7], v[vgprValuA_X0_I0+7], v[vgprValuA_X0_I0_D1+7] // pack two half Vgpr to one Vgpr
v_mfma_f32_16x16x16_bf16 a[8+0:11+0], v[vgprValuB_X0_I0+0+0+0:vgprValuB_X0_I0+0+0+0+1], v[vgprValuA_X0_I0+4+0+0:vgprValuA_X0_I0+4+0+0+1], a[8:11]
/*  mfmaIndex:3  */
_ds_load_u16 v[vgprValuA_X1_I0+1], v[vgprLocalReadAddrA] offset:9216 // L -> Reg lro=4096 swapByteOffset=0 ti=256 vIdx=0 rIdx=2 oIdx=0 buffer=1 iui=0
s_cselect_b32 s77, s[sgprWrapUA+1], 0              // incUpper <- ?
v_mfma_f32_16x16x16_bf16 a[12+0:15+0], v[vgprValuB_X0_I0+0+0+0:vgprValuB_X0_I0+0+0+0+1], v[vgprValuA_X0_I0+6+0+0:vgprValuA_X0_I0+6+0+0+1], a[12:15]
/*  mfmaIndex:4  */
_ds_load_u16_d16_hi v[vgprValuA_X1_I0_D1+1], v[vgprLocalReadAddrA] offset:9728 // L -> Reg lro=4096 swapByteOffset=0 ti=256 vIdx=0 rIdx=3 oIdx=0 buffer=1 iui=0
s_add_u32 s[sgprSrdA+0], s[sgprSrdA+0], s76        // gra SRD += inc(lower)
v_mfma_f32_16x16x16_bf16 a[28+0:31+0], v[vgprValuB_X0_I0+2+0+0:vgprValuB_X0_I0+2+0+0+1], v[vgprValuA_X0_I0+6+0+0:vgprValuA_X0_I0+6+0+0+1], a[28:31]
/*  mfmaIndex:5  */
_ds_load_b64 v[vgprValuB_X1_I0+0:vgprValuB_X1_I0+0+1], v[vgprLocalReadAddrB] offset:32 // L -> Reg lro=16 swapByteOffset=0 ti=16 vIdx=0 rIdx=0 oIdx=0 buffer=1 iui=0
s_addc_u32  s[sgprSrdA+1], s[sgprSrdA+1], s77      // gra SRD += inc(upper)
v_mfma_f32_16x16x16_bf16 a[24+0:27+0], v[vgprValuB_X0_I0+2+0+0:vgprValuB_X0_I0+2+0+0+1], v[vgprValuA_X0_I0+4+0+0:vgprValuA_X0_I0+4+0+0+1], a[24:27]
/*  mfmaIndex:6  */
_ds_load_u16 v[vgprValuA_X1_I0+2], v[vgprLocalReadAddrA] offset:8194 // L -> Reg lro=4096 swapByteOffset=0 ti=256 vIdx=0 rIdx=0 oIdx=0 buffer=1 iui=0
s_sub_u32 s[sgprShadowLimitA+0], s[sgprShadowLimitA+0], s76 // limit -= inc)
v_mfma_f32_16x16x16_bf16 a[20+0:23+0], v[vgprValuB_X0_I0+2+0+0:vgprValuB_X0_I0+2+0+0+1], v[vgprValuA_X0_I0+2+0+0:vgprValuA_X0_I0+2+0+0+1], a[20:23]
/*  mfmaIndex:7  */
_ds_load_u16_d16_hi v[vgprValuA_X1_I0_D1+2], v[vgprLocalReadAddrA] offset:8706 // L -> Reg lro=4096 swapByteOffset=0 ti=256 vIdx=0 rIdx=1 oIdx=0 buffer=1 iui=0
s_subb_u32 s[sgprShadowLimitA+1], s[sgprShadowLimitA+1], s77 // limit -= inc)
v_mfma_f32_16x16x16_bf16 a[16+0:19+0], v[vgprValuB_X0_I0+2+0+0:vgprValuB_X0_I0+2+0+0+1], v[vgprValuA_X0_I0+0+0+0:vgprValuA_X0_I0+0+0+0+1], a[16:19]
/*  mfmaIndex:8  */
_ds_load_u16 v[vgprValuA_X1_I0+3], v[vgprLocalReadAddrA] offset:9218 // L -> Reg lro=4096 swapByteOffset=0 ti=256 vIdx=0 rIdx=2 oIdx=0 buffer=1 iui=0
s_cmp_eq_u32 s[sgprShadowLimitA+1], 0              // are we within 2^32?
v_mfma_f32_16x16x16_bf16 a[32+0:35+0], v[vgprValuB_X0_I0+4+0+0:vgprValuB_X0_I0+4+0+0+1], v[vgprValuA_X0_I0+0+0+0:vgprValuA_X0_I0+0+0+0+1], a[32:35]
/*  mfmaIndex:9  */
_ds_load_u16_d16_hi v[vgprValuA_X1_I0_D1+3], v[vgprLocalReadAddrA] offset:9730 // L -> Reg lro=4096 swapByteOffset=0 ti=256 vIdx=0 rIdx=3 oIdx=0 buffer=1 iui=0
s_cselect_b32 s[sgprSrdA+2], s[sgprShadowLimitA+0], BufferLimitA // Move shadow to real if we are within 2^32
v_mfma_f32_16x16x16_bf16 a[36+0:39+0], v[vgprValuB_X0_I0+4+0+0:vgprValuB_X0_I0+4+0+0+1], v[vgprValuA_X0_I0+2+0+0:vgprValuA_X0_I0+2+0+0+1], a[36:39]
/*  mfmaIndex:10  */
_ds_load_u16 v[vgprValuA_X1_I0+4], v[vgprLocalReadAddrA] offset:8196 // L -> Reg lro=4096 swapByteOffset=0 ti=256 vIdx=0 rIdx=0 oIdx=0 buffer=1 iui=0

/* global read inc B loopL */
s_cmp_eq_u32 s[sgprLoopCounterL], s[sgprStaggerUIter] // Is this the wrapIter?
v_mfma_f32_16x16x16_bf16 a[40+0:43+0], v[vgprValuB_X0_I0+4+0+0:vgprValuB_X0_I0+4+0+0+1], v[vgprValuA_X0_I0+4+0+0:vgprValuA_X0_I0+4+0+0+1], a[40:43]
/*  mfmaIndex:11  */
_ds_load_u16_d16_hi v[vgprValuA_X1_I0_D1+4], v[vgprLocalReadAddrA] offset:8708 // L -> Reg lro=4096 swapByteOffset=0 ti=256 vIdx=0 rIdx=1 oIdx=0 buffer=1 iui=0
s_cselect_b32 s76, s[sgprWrapUB+0], s[sgprGlobalReadIncsB+0] // incLower <- ?
v_mfma_f32_16x16x16_bf16 a[44+0:47+0], v[vgprValuB_X0_I0+4+0+0:vgprValuB_X0_I0+4+0+0+1], v[vgprValuA_X0_I0+6+0+0:vgprValuA_X0_I0+6+0+0+1], a[44:47]
/*  mfmaIndex:12  */
_ds_load_u16 v[vgprValuA_X1_I0+5], v[vgprLocalReadAddrA] offset:9220 // L -> Reg lro=4096 swapByteOffset=0 ti=256 vIdx=0 rIdx=2 oIdx=0 buffer=1 iui=0
s_cselect_b32 s77, s[sgprWrapUB+1], 0              // incUpper <- ?
v_mfma_f32_16x16x16_bf16 a[60+0:63+0], v[vgprValuB_X0_I0+6+0+0:vgprValuB_X0_I0+6+0+0+1], v[vgprValuA_X0_I0+6+0+0:vgprValuA_X0_I0+6+0+0+1], a[60:63]
/*  mfmaIndex:13  */
_ds_load_u16_d16_hi v[vgprValuA_X1_I0_D1+5], v[vgprLocalReadAddrA] offset:9732 // L -> Reg lro=4096 swapByteOffset=0 ti=256 vIdx=0 rIdx=3 oIdx=0 buffer=1 iui=0
s_add_u32 s[sgprSrdB+0], s[sgprSrdB+0], s76        // gra SRD += inc(lower)
v_mfma_f32_16x16x16_bf16 a[56+0:59+0], v[vgprValuB_X0_I0+6+0+0:vgprValuB_X0_I0+6+0+0+1], v[vgprValuA_X0_I0+4+0+0:vgprValuA_X0_I0+4+0+0+1], a[56:59]
/*  mfmaIndex:14  */
_ds_load_u16 v[vgprValuA_X1_I0+6], v[vgprLocalReadAddrA] offset:8198 // L -> Reg lro=4096 swapByteOffset=0 ti=256 vIdx=0 rIdx=0 oIdx=0 buffer=1 iui=0
s_addc_u32  s[sgprSrdB+1], s[sgprSrdB+1], s77      // gra SRD += inc(upper)
v_mfma_f32_16x16x16_bf16 a[52+0:55+0], v[vgprValuB_X0_I0+6+0+0:vgprValuB_X0_I0+6+0+0+1], v[vgprValuA_X0_I0+2+0+0:vgprValuA_X0_I0+2+0+0+1], a[52:55]
/*  mfmaIndex:15  */
_ds_load_u16_d16_hi v[vgprValuA_X1_I0_D1+6], v[vgprLocalReadAddrA] offset:8710 // L -> Reg lro=4096 swapByteOffset=0 ti=256 vIdx=0 rIdx=1 oIdx=0 buffer=1 iui=0
s_sub_u32 s[sgprShadowLimitB+0], s[sgprShadowLimitB+0], s76 // limit -= inc)
v_mfma_f32_16x16x16_bf16 a[48+0:51+0], v[vgprValuB_X0_I0+6+0+0:vgprValuB_X0_I0+6+0+0+1], v[vgprValuA_X0_I0+0+0+0:vgprValuA_X0_I0+0+0+0+1], a[48:51]
/*  mfmaIndex:16  */
_ds_load_u16 v[vgprValuA_X1_I0+7], v[vgprLocalReadAddrA] offset:9222 // L -> Reg lro=4096 swapByteOffset=0 ti=256 vIdx=0 rIdx=2 oIdx=0 buffer=1 iui=0
s_subb_u32 s[sgprShadowLimitB+1], s[sgprShadowLimitB+1], s77 // limit -= inc)
v_mfma_f32_16x16x16_bf16 a[64+0:67+0], v[vgprValuB_X0_I0+8+0+0:vgprValuB_X0_I0+8+0+0+1], v[vgprValuA_X0_I0+0+0+0:vgprValuA_X0_I0+0+0+0+1], a[64:67]
/*  mfmaIndex:17  */
_ds_load_u16_d16_hi v[vgprValuA_X1_I0_D1+7], v[vgprLocalReadAddrA] offset:9734 // L -> Reg lro=4096 swapByteOffset=0 ti=256 vIdx=0 rIdx=3 oIdx=0 buffer=1 iui=0
s_cmp_eq_u32 s[sgprShadowLimitB+1], 0              // are we within 2^32?
v_mfma_f32_16x16x16_bf16 a[68+0:71+0], v[vgprValuB_X0_I0+8+0+0:vgprValuB_X0_I0+8+0+0+1], v[vgprValuA_X0_I0+2+0+0:vgprValuA_X0_I0+2+0+0+1], a[68:71]
/*  mfmaIndex:18  */
_ds_load_b64 v[vgprValuB_X1_I0+2:vgprValuB_X1_I0+2+1], v[vgprLocalReadAddrB] offset:2208 // L -> Reg lro=16 swapByteOffset=0 ti=16 vIdx=1 rIdx=0 oIdx=0 buffer=1 iui=0
s_cselect_b32 s[sgprSrdB+2], s[sgprShadowLimitB+0], BufferLimitB // Move shadow to real if we are within 2^32
v_mfma_f32_16x16x16_bf16 a[72+0:75+0], v[vgprValuB_X0_I0+8+0+0:vgprValuB_X0_I0+8+0+0+1], v[vgprValuA_X0_I0+4+0+0:vgprValuA_X0_I0+4+0+0+1], a[72:75]
/*  mfmaIndex:19  */
_ds_load_b64 v[vgprValuB_X1_I0+4:vgprValuB_X1_I0+4+1], v[vgprLocalReadAddrB] offset:4384 // L -> Reg lro=16 swapByteOffset=0 ti=16 vIdx=2 rIdx=0 oIdx=0 buffer=1 iui=0
v_mfma_f32_16x16x16_bf16 a[76+0:79+0], v[vgprValuB_X0_I0+8+0+0:vgprValuB_X0_I0+8+0+0+1], v[vgprValuA_X0_I0+6+0+0:vgprValuA_X0_I0+6+0+0+1], a[76:79]
/*  mfmaIndex:20  */
_ds_load_b64 v[vgprValuB_X1_I0+6:vgprValuB_X1_I0+6+1], v[vgprLocalReadAddrB] offset:6560 // L -> Reg lro=16 swapByteOffset=0 ti=16 vIdx=3 rIdx=0 oIdx=0 buffer=1 iui=0
	;; [unrolled: 3-line block ×12, first 2 shown]
v_mfma_f32_16x16x16_bf16 a[116+0:119+0], v[vgprValuB_X0_I0+14+0+0:vgprValuB_X0_I0+14+0+0+1], v[vgprValuA_X0_I0+2+0+0:vgprValuA_X0_I0+2+0+0+1], a[116:119]
/*  mfmaIndex:31  */
/* localReadsVacancy: latencyLeft 2 */
_ds_load_u16 v[vgprValuA_X2_I0+0], v[vgprLocalReadAddrA] offset:16384 // L -> Reg lro=8192 swapByteOffset=0 ti=256 vIdx=0 rIdx=0 oIdx=0 buffer=2 iui=0
v_mfma_f32_16x16x16_bf16 a[112+0:115+0], v[vgprValuB_X0_I0+14+0+0:vgprValuB_X0_I0+14+0+0+1], v[vgprValuA_X0_I0+0+0+0:vgprValuA_X0_I0+0+0+0+1], a[112:115]
/*  mfmaIndex:32  */
/* localReadsVacancy: latencyLeft 2 */
_ds_load_u16_d16_hi v[vgprValuA_X2_I0_D1+0], v[vgprLocalReadAddrA] offset:16896 // L -> Reg lro=8192 swapByteOffset=0 ti=256 vIdx=0 rIdx=1 oIdx=0 buffer=2 iui=0
v_mfma_f32_16x16x16_bf16 a[128+0:131+0], v[vgprValuB_X0_I0+16+0+0:vgprValuB_X0_I0+16+0+0+1], v[vgprValuA_X0_I0+0+0+0:vgprValuA_X0_I0+0+0+0+1], a[128:131]
/*  mfmaIndex:33  */
/* localReadsVacancy: latencyLeft 2 */
_ds_load_u16 v[vgprValuA_X2_I0+1], v[vgprLocalReadAddrA] offset:17408 // L -> Reg lro=8192 swapByteOffset=0 ti=256 vIdx=0 rIdx=2 oIdx=0 buffer=2 iui=0
v_mfma_f32_16x16x16_bf16 a[132+0:135+0], v[vgprValuB_X0_I0+16+0+0:vgprValuB_X0_I0+16+0+0+1], v[vgprValuA_X0_I0+2+0+0:vgprValuA_X0_I0+2+0+0+1], a[132:135]
/*  mfmaIndex:34  */
/* localReadsVacancy: latencyLeft 2 */
_ds_load_u16_d16_hi v[vgprValuA_X2_I0_D1+1], v[vgprLocalReadAddrA] offset:17920 // L -> Reg lro=8192 swapByteOffset=0 ti=256 vIdx=0 rIdx=3 oIdx=0 buffer=2 iui=0
v_mfma_f32_16x16x16_bf16 a[136+0:139+0], v[vgprValuB_X0_I0+16+0+0:vgprValuB_X0_I0+16+0+0+1], v[vgprValuA_X0_I0+4+0+0:vgprValuA_X0_I0+4+0+0+1], a[136:139]
/*  mfmaIndex:35  */
/* localReadsVacancy: latencyLeft 2 */
_ds_load_b64 v[vgprValuB_X2_I0+0:vgprValuB_X2_I0+0+1], v[vgprLocalReadAddrB] offset:64 // L -> Reg lro=32 swapByteOffset=0 ti=16 vIdx=0 rIdx=0 oIdx=0 buffer=2 iui=0
v_mfma_f32_16x16x16_bf16 a[140+0:143+0], v[vgprValuB_X0_I0+16+0+0:vgprValuB_X0_I0+16+0+0+1], v[vgprValuA_X0_I0+6+0+0:vgprValuA_X0_I0+6+0+0+1], a[140:143]
/*  mfmaIndex:36  */
/* localReadsVacancy: latencyLeft 2 */
_ds_load_u16 v[vgprValuA_X2_I0+2], v[vgprLocalReadAddrA] offset:16386 // L -> Reg lro=8192 swapByteOffset=0 ti=256 vIdx=0 rIdx=0 oIdx=0 buffer=2 iui=0
v_mfma_f32_16x16x16_bf16 a[156+0:159+0], v[vgprValuB_X0_I0+18+0+0:vgprValuB_X0_I0+18+0+0+1], v[vgprValuA_X0_I0+6+0+0:vgprValuA_X0_I0+6+0+0+1], a[156:159]
/*  mfmaIndex:37  */
/* localReadsVacancy: latencyLeft 2 */
_ds_load_u16_d16_hi v[vgprValuA_X2_I0_D1+2], v[vgprLocalReadAddrA] offset:16898 // L -> Reg lro=8192 swapByteOffset=0 ti=256 vIdx=0 rIdx=1 oIdx=0 buffer=2 iui=0
v_mfma_f32_16x16x16_bf16 a[152+0:155+0], v[vgprValuB_X0_I0+18+0+0:vgprValuB_X0_I0+18+0+0+1], v[vgprValuA_X0_I0+4+0+0:vgprValuA_X0_I0+4+0+0+1], a[152:155]
/*  mfmaIndex:38  */
/* localReadsVacancy: latencyLeft 2 */
_ds_load_u16 v[vgprValuA_X2_I0+3], v[vgprLocalReadAddrA] offset:17410 // L -> Reg lro=8192 swapByteOffset=0 ti=256 vIdx=0 rIdx=2 oIdx=0 buffer=2 iui=0
v_mfma_f32_16x16x16_bf16 a[148+0:151+0], v[vgprValuB_X0_I0+18+0+0:vgprValuB_X0_I0+18+0+0+1], v[vgprValuA_X0_I0+2+0+0:vgprValuA_X0_I0+2+0+0+1], a[148:151]
/*  mfmaIndex:39  */
/* localReadsVacancy: latencyLeft 2 */
_ds_load_u16_d16_hi v[vgprValuA_X2_I0_D1+3], v[vgprLocalReadAddrA] offset:17922 // L -> Reg lro=8192 swapByteOffset=0 ti=256 vIdx=0 rIdx=3 oIdx=0 buffer=2 iui=0
v_mfma_f32_16x16x16_bf16 a[144+0:147+0], v[vgprValuB_X0_I0+18+0+0:vgprValuB_X0_I0+18+0+0+1], v[vgprValuA_X0_I0+0+0+0:vgprValuA_X0_I0+0+0+0+1], a[144:147]
/*  mfmaIndex:40  */
/* localReadsVacancy: latencyLeft 2 */
_ds_load_u16 v[vgprValuA_X2_I0+4], v[vgprLocalReadAddrA] offset:16388 // L -> Reg lro=8192 swapByteOffset=0 ti=256 vIdx=0 rIdx=0 oIdx=0 buffer=2 iui=0
v_mfma_f32_16x16x16_bf16 a[160+0:163+0], v[vgprValuB_X0_I0+20+0+0:vgprValuB_X0_I0+20+0+0+1], v[vgprValuA_X0_I0+0+0+0:vgprValuA_X0_I0+0+0+0+1], a[160:163]
/*  mfmaIndex:41  */
/* localReadsVacancy: latencyLeft 2 */
_ds_load_u16_d16_hi v[vgprValuA_X2_I0_D1+4], v[vgprLocalReadAddrA] offset:16900 // L -> Reg lro=8192 swapByteOffset=0 ti=256 vIdx=0 rIdx=1 oIdx=0 buffer=2 iui=0
v_mfma_f32_16x16x16_bf16 a[164+0:167+0], v[vgprValuB_X0_I0+20+0+0:vgprValuB_X0_I0+20+0+0+1], v[vgprValuA_X0_I0+2+0+0:vgprValuA_X0_I0+2+0+0+1], a[164:167]
/*  mfmaIndex:42  */
/* localReadsVacancy: latencyLeft 2 */
_ds_load_u16 v[vgprValuA_X2_I0+5], v[vgprLocalReadAddrA] offset:17412 // L -> Reg lro=8192 swapByteOffset=0 ti=256 vIdx=0 rIdx=2 oIdx=0 buffer=2 iui=0
v_mfma_f32_16x16x16_bf16 a[168+0:171+0], v[vgprValuB_X0_I0+20+0+0:vgprValuB_X0_I0+20+0+0+1], v[vgprValuA_X0_I0+4+0+0:vgprValuA_X0_I0+4+0+0+1], a[168:171]
/*  mfmaIndex:43  */
/* localReadsVacancy: latencyLeft 2 */
_ds_load_u16_d16_hi v[vgprValuA_X2_I0_D1+5], v[vgprLocalReadAddrA] offset:17924 // L -> Reg lro=8192 swapByteOffset=0 ti=256 vIdx=0 rIdx=3 oIdx=0 buffer=2 iui=0
v_mfma_f32_16x16x16_bf16 a[172+0:175+0], v[vgprValuB_X0_I0+20+0+0:vgprValuB_X0_I0+20+0+0+1], v[vgprValuA_X0_I0+6+0+0:vgprValuA_X0_I0+6+0+0+1], a[172:175]
/*  mfmaIndex:44  */
/* localReadsVacancy: latencyLeft 2 */
_ds_load_u16 v[vgprValuA_X2_I0+6], v[vgprLocalReadAddrA] offset:16390 // L -> Reg lro=8192 swapByteOffset=0 ti=256 vIdx=0 rIdx=0 oIdx=0 buffer=2 iui=0
v_mfma_f32_16x16x16_bf16 a[188+0:191+0], v[vgprValuB_X0_I0+22+0+0:vgprValuB_X0_I0+22+0+0+1], v[vgprValuA_X0_I0+6+0+0:vgprValuA_X0_I0+6+0+0+1], a[188:191]
/*  mfmaIndex:45  */
/* localReadsVacancy: latencyLeft 2 */
_ds_load_u16_d16_hi v[vgprValuA_X2_I0_D1+6], v[vgprLocalReadAddrA] offset:16902 // L -> Reg lro=8192 swapByteOffset=0 ti=256 vIdx=0 rIdx=1 oIdx=0 buffer=2 iui=0
v_mfma_f32_16x16x16_bf16 a[184+0:187+0], v[vgprValuB_X0_I0+22+0+0:vgprValuB_X0_I0+22+0+0+1], v[vgprValuA_X0_I0+4+0+0:vgprValuA_X0_I0+4+0+0+1], a[184:187]
/*  mfmaIndex:46  */
/* localReadsVacancy: latencyLeft 2 */
_ds_load_u16 v[vgprValuA_X2_I0+7], v[vgprLocalReadAddrA] offset:17414 // L -> Reg lro=8192 swapByteOffset=0 ti=256 vIdx=0 rIdx=2 oIdx=0 buffer=2 iui=0
v_mfma_f32_16x16x16_bf16 a[180+0:183+0], v[vgprValuB_X0_I0+22+0+0:vgprValuB_X0_I0+22+0+0+1], v[vgprValuA_X0_I0+2+0+0:vgprValuA_X0_I0+2+0+0+1], a[180:183]
/*  mfmaIndex:47  */
/* localReadsVacancy: latencyLeft 2 */
_ds_load_u16_d16_hi v[vgprValuA_X2_I0_D1+7], v[vgprLocalReadAddrA] offset:17926 // L -> Reg lro=8192 swapByteOffset=0 ti=256 vIdx=0 rIdx=3 oIdx=0 buffer=2 iui=0
v_mfma_f32_16x16x16_bf16 a[176+0:179+0], v[vgprValuB_X0_I0+22+0+0:vgprValuB_X0_I0+22+0+0+1], v[vgprValuA_X0_I0+0+0+0:vgprValuA_X0_I0+0+0+0+1], a[176:179]
/*  mfmaIndex:48  */
/* localReadsVacancy: latencyLeft 2 */
_ds_load_b64 v[vgprValuB_X2_I0+2:vgprValuB_X2_I0+2+1], v[vgprLocalReadAddrB] offset:2240 // L -> Reg lro=32 swapByteOffset=0 ti=16 vIdx=1 rIdx=0 oIdx=0 buffer=2 iui=0
v_mfma_f32_16x16x16_bf16 a[192+0:195+0], v[vgprValuB_X0_I0+24+0+0:vgprValuB_X0_I0+24+0+0+1], v[vgprValuA_X0_I0+0+0+0:vgprValuA_X0_I0+0+0+0+1], a[192:195]
/*  mfmaIndex:49  */
/* localReadsVacancy: latencyLeft 2 */
_ds_load_b64 v[vgprValuB_X2_I0+4:vgprValuB_X2_I0+4+1], v[vgprLocalReadAddrB] offset:4416 // L -> Reg lro=32 swapByteOffset=0 ti=16 vIdx=2 rIdx=0 oIdx=0 buffer=2 iui=0
	;; [unrolled: 4-line block ×8, first 2 shown]
v_mfma_f32_16x16x16_bf16 a[208+0:211+0], v[vgprValuB_X0_I0+26+0+0:vgprValuB_X0_I0+26+0+0+1], v[vgprValuA_X0_I0+0+0+0:vgprValuA_X0_I0+0+0+0+1], a[208:211]
/* numPrefetchIter=0 */
/* dataAtIterA=-1 numReadsIterA=1 skipReadsIterA=1 readsPerIterA=16 */
/* dataAtIterB=-1 numReadsIterB=1 skipReadsIterB=1 readsPerIterB=14 */


/* iter 1 */

/*  grEndMfmaIndex:18, lwStartMfmaIndex:98, lwEndMfmaIndex:183  */
/*  numMfmaForLR:35, barrierMfmaIndex:188, LocalWritePerMfma:0.250 */
/*  mfmaIndex:56  */
_ds_load_b64 v[vgprValuB_X2_I0+18:vgprValuB_X2_I0+18+1], v[vgprLocalReadAddrB] offset:19648 // L -> Reg lro=32 swapByteOffset=0 ti=16 vIdx=9 rIdx=0 oIdx=0 buffer=2 iui=0
s_waitcnt lgkmcnt(15)                              // lgkmcnt=0 vmcnt=-1wait for prior local read local write old=25, new=26 newLW=0 newLR=1
/* pack scheduling: packAIdx:2, packBIdx:0 */
v_or_b32 v[vgprValuA_X1_I0+0], v[vgprValuA_X1_I0+0], v[vgprValuA_X1_I0_D1+0] // pack two half Vgpr to one Vgpr
v_or_b32 v[vgprValuA_X1_I0+1], v[vgprValuA_X1_I0+1], v[vgprValuA_X1_I0_D1+1] // pack two half Vgpr to one Vgpr
	;; [unrolled: 1-line block ×4, first 2 shown]
v_mfma_f32_16x16x16_bf16 a[0+0:3+0], v[vgprValuB_X1_I0+0+0+0:vgprValuB_X1_I0+0+0+0+1], v[vgprValuA_X1_I0+0+0+0:vgprValuA_X1_I0+0+0+0+1], a[0:3]
/*  mfmaIndex:57  */
_ds_load_b64 v[vgprValuB_X2_I0+20:vgprValuB_X2_I0+20+1], v[vgprLocalReadAddrB] offset:21824 // L -> Reg lro=32 swapByteOffset=0 ti=16 vIdx=10 rIdx=0 oIdx=0 buffer=2 iui=0
/* pack scheduling: packAIdx:4, packBIdx:0 */
v_or_b32 v[vgprValuA_X1_I0+4], v[vgprValuA_X1_I0+4], v[vgprValuA_X1_I0_D1+4] // pack two half Vgpr to one Vgpr
v_or_b32 v[vgprValuA_X1_I0+5], v[vgprValuA_X1_I0+5], v[vgprValuA_X1_I0_D1+5] // pack two half Vgpr to one Vgpr
v_mfma_f32_16x16x16_bf16 a[4+0:7+0], v[vgprValuB_X1_I0+0+0+0:vgprValuB_X1_I0+0+0+0+1], v[vgprValuA_X1_I0+2+0+0:vgprValuA_X1_I0+2+0+0+1], a[4:7]
/*  mfmaIndex:58  */
_ds_load_b64 v[vgprValuB_X2_I0+22:vgprValuB_X2_I0+22+1], v[vgprLocalReadAddrB] offset:24000 // L -> Reg lro=32 swapByteOffset=0 ti=16 vIdx=11 rIdx=0 oIdx=0 buffer=2 iui=0
/* pack scheduling: packAIdx:6, packBIdx:0 */
v_or_b32 v[vgprValuA_X1_I0+6], v[vgprValuA_X1_I0+6], v[vgprValuA_X1_I0_D1+6] // pack two half Vgpr to one Vgpr
v_or_b32 v[vgprValuA_X1_I0+7], v[vgprValuA_X1_I0+7], v[vgprValuA_X1_I0_D1+7] // pack two half Vgpr to one Vgpr
v_mfma_f32_16x16x16_bf16 a[8+0:11+0], v[vgprValuB_X1_I0+0+0+0:vgprValuB_X1_I0+0+0+0+1], v[vgprValuA_X1_I0+4+0+0:vgprValuA_X1_I0+4+0+0+1], a[8:11]
/*  mfmaIndex:59  */
_ds_load_b64 v[vgprValuB_X2_I0+24:vgprValuB_X2_I0+24+1], v[vgprLocalReadAddrB] offset:26176 // L -> Reg lro=32 swapByteOffset=0 ti=16 vIdx=12 rIdx=0 oIdx=0 buffer=2 iui=0
v_mfma_f32_16x16x16_bf16 a[12+0:15+0], v[vgprValuB_X1_I0+0+0+0:vgprValuB_X1_I0+0+0+0+1], v[vgprValuA_X1_I0+6+0+0:vgprValuA_X1_I0+6+0+0+1], a[12:15]
/*  mfmaIndex:60  */
_ds_load_b64 v[vgprValuB_X2_I0+26:vgprValuB_X2_I0+26+1], v[vgprLocalReadAddrB] offset:28352 // L -> Reg lro=32 swapByteOffset=0 ti=16 vIdx=13 rIdx=0 oIdx=0 buffer=2 iui=0
v_mfma_f32_16x16x16_bf16 a[28+0:31+0], v[vgprValuB_X1_I0+2+0+0:vgprValuB_X1_I0+2+0+0+1], v[vgprValuA_X1_I0+6+0+0:vgprValuA_X1_I0+6+0+0+1], a[28:31]
/*  mfmaIndex:61  */
/* localReadsVacancy: latencyLeft 2 */
_ds_load_u16 v[vgprValuA_X3_I0+0], v[vgprLocalReadAddrA] offset:24576 // L -> Reg lro=12288 swapByteOffset=0 ti=256 vIdx=0 rIdx=0 oIdx=0 buffer=3 iui=0
v_mfma_f32_16x16x16_bf16 a[24+0:27+0], v[vgprValuB_X1_I0+2+0+0:vgprValuB_X1_I0+2+0+0+1], v[vgprValuA_X1_I0+4+0+0:vgprValuA_X1_I0+4+0+0+1], a[24:27]
/*  mfmaIndex:62  */
/* localReadsVacancy: latencyLeft 2 */
_ds_load_u16_d16_hi v[vgprValuA_X3_I0_D1+0], v[vgprLocalReadAddrA] offset:25088 // L -> Reg lro=12288 swapByteOffset=0 ti=256 vIdx=0 rIdx=1 oIdx=0 buffer=3 iui=0
v_mfma_f32_16x16x16_bf16 a[20+0:23+0], v[vgprValuB_X1_I0+2+0+0:vgprValuB_X1_I0+2+0+0+1], v[vgprValuA_X1_I0+2+0+0:vgprValuA_X1_I0+2+0+0+1], a[20:23]
/*  mfmaIndex:63  */
/* localReadsVacancy: latencyLeft 2 */
_ds_load_u16 v[vgprValuA_X3_I0+1], v[vgprLocalReadAddrA] offset:25600 // L -> Reg lro=12288 swapByteOffset=0 ti=256 vIdx=0 rIdx=2 oIdx=0 buffer=3 iui=0
v_mfma_f32_16x16x16_bf16 a[16+0:19+0], v[vgprValuB_X1_I0+2+0+0:vgprValuB_X1_I0+2+0+0+1], v[vgprValuA_X1_I0+0+0+0:vgprValuA_X1_I0+0+0+0+1], a[16:19]
/*  mfmaIndex:64  */
/* localReadsVacancy: latencyLeft 2 */
_ds_load_u16_d16_hi v[vgprValuA_X3_I0_D1+1], v[vgprLocalReadAddrA] offset:26112 // L -> Reg lro=12288 swapByteOffset=0 ti=256 vIdx=0 rIdx=3 oIdx=0 buffer=3 iui=0
v_mfma_f32_16x16x16_bf16 a[32+0:35+0], v[vgprValuB_X1_I0+4+0+0:vgprValuB_X1_I0+4+0+0+1], v[vgprValuA_X1_I0+0+0+0:vgprValuA_X1_I0+0+0+0+1], a[32:35]
/*  mfmaIndex:65  */
/* localReadsVacancy: latencyLeft 2 */
_ds_load_b64 v[vgprValuB_X3_I0+0:vgprValuB_X3_I0+0+1], v[vgprLocalReadAddrB] offset:96 // L -> Reg lro=48 swapByteOffset=0 ti=16 vIdx=0 rIdx=0 oIdx=0 buffer=3 iui=0
v_mfma_f32_16x16x16_bf16 a[36+0:39+0], v[vgprValuB_X1_I0+4+0+0:vgprValuB_X1_I0+4+0+0+1], v[vgprValuA_X1_I0+2+0+0:vgprValuA_X1_I0+2+0+0+1], a[36:39]
/*  mfmaIndex:66  */
/* localReadsVacancy: latencyLeft 2 */
_ds_load_u16 v[vgprValuA_X3_I0+2], v[vgprLocalReadAddrA] offset:24578 // L -> Reg lro=12288 swapByteOffset=0 ti=256 vIdx=0 rIdx=0 oIdx=0 buffer=3 iui=0
v_mfma_f32_16x16x16_bf16 a[40+0:43+0], v[vgprValuB_X1_I0+4+0+0:vgprValuB_X1_I0+4+0+0+1], v[vgprValuA_X1_I0+4+0+0:vgprValuA_X1_I0+4+0+0+1], a[40:43]
/*  mfmaIndex:67  */
/* localReadsVacancy: latencyLeft 2 */
_ds_load_u16_d16_hi v[vgprValuA_X3_I0_D1+2], v[vgprLocalReadAddrA] offset:25090 // L -> Reg lro=12288 swapByteOffset=0 ti=256 vIdx=0 rIdx=1 oIdx=0 buffer=3 iui=0
v_mfma_f32_16x16x16_bf16 a[44+0:47+0], v[vgprValuB_X1_I0+4+0+0:vgprValuB_X1_I0+4+0+0+1], v[vgprValuA_X1_I0+6+0+0:vgprValuA_X1_I0+6+0+0+1], a[44:47]
/*  mfmaIndex:68  */
/* localReadsVacancy: latencyLeft 2 */
_ds_load_u16 v[vgprValuA_X3_I0+3], v[vgprLocalReadAddrA] offset:25602 // L -> Reg lro=12288 swapByteOffset=0 ti=256 vIdx=0 rIdx=2 oIdx=0 buffer=3 iui=0
v_mfma_f32_16x16x16_bf16 a[60+0:63+0], v[vgprValuB_X1_I0+6+0+0:vgprValuB_X1_I0+6+0+0+1], v[vgprValuA_X1_I0+6+0+0:vgprValuA_X1_I0+6+0+0+1], a[60:63]
/*  mfmaIndex:69  */
/* localReadsVacancy: latencyLeft 2 */
_ds_load_u16_d16_hi v[vgprValuA_X3_I0_D1+3], v[vgprLocalReadAddrA] offset:26114 // L -> Reg lro=12288 swapByteOffset=0 ti=256 vIdx=0 rIdx=3 oIdx=0 buffer=3 iui=0
	;; [unrolled: 8-line block ×6, first 2 shown]
v_mfma_f32_16x16x16_bf16 a[88+0:91+0], v[vgprValuB_X1_I0+10+0+0:vgprValuB_X1_I0+10+0+0+1], v[vgprValuA_X1_I0+4+0+0:vgprValuA_X1_I0+4+0+0+1], a[88:91]
/*  mfmaIndex:78  */
/* localReadsVacancy: latencyLeft 2 */
_ds_load_b64 v[vgprValuB_X3_I0+2:vgprValuB_X3_I0+2+1], v[vgprLocalReadAddrB] offset:2272 // L -> Reg lro=48 swapByteOffset=0 ti=16 vIdx=1 rIdx=0 oIdx=0 buffer=3 iui=0
v_mfma_f32_16x16x16_bf16 a[84+0:87+0], v[vgprValuB_X1_I0+10+0+0:vgprValuB_X1_I0+10+0+0+1], v[vgprValuA_X1_I0+2+0+0:vgprValuA_X1_I0+2+0+0+1], a[84:87]
/*  mfmaIndex:79  */
/* localReadsVacancy: latencyLeft 2 */
_ds_load_b64 v[vgprValuB_X3_I0+4:vgprValuB_X3_I0+4+1], v[vgprLocalReadAddrB] offset:4448 // L -> Reg lro=48 swapByteOffset=0 ti=16 vIdx=2 rIdx=0 oIdx=0 buffer=3 iui=0
	;; [unrolled: 4-line block ×13, first 2 shown]
v_mfma_f32_16x16x16_bf16 a[136+0:139+0], v[vgprValuB_X1_I0+16+0+0:vgprValuB_X1_I0+16+0+0+1], v[vgprValuA_X1_I0+4+0+0:vgprValuA_X1_I0+4+0+0+1], a[136:139]
/*  mfmaIndex:91  */
/* localReadsVacancy: latencyLeft 2 */
v_mfma_f32_16x16x16_bf16 a[140+0:143+0], v[vgprValuB_X1_I0+16+0+0:vgprValuB_X1_I0+16+0+0+1], v[vgprValuA_X1_I0+6+0+0:vgprValuA_X1_I0+6+0+0+1], a[140:143]
/*  mfmaIndex:92  */
/* localReadsVacancy: latencyLeft 2 */
	;; [unrolled: 3-line block ×7, first 2 shown]
/* 1 LDS buffer: read-sync-write */
s_waitcnt lgkmcnt(0)                               // 
s_barrier                                          // 
v_mfma_f32_16x16x16_bf16 a[164+0:167+0], v[vgprValuB_X1_I0+20+0+0:vgprValuB_X1_I0+20+0+0+1], v[vgprValuA_X1_I0+2+0+0:vgprValuA_X1_I0+2+0+0+1], a[164:167]
/*  mfmaIndex:98  */
s_setprio 3                                        // store optimization
/* sched write - iter 1 writesPerItem=1 */
s_waitcnt vmcnt(0)                                 // lgkmcnt=-1 vmcnt=0wait for global read before writing to local
_ds_store_b128 v[vgprLocalWriteAddrA], v[vgprG2LA+0:vgprG2LA+0+3] offset:0 // lwoA_0_0_0_0 = (0*LSCA) + (0*LSPA)(*MT0I+PAD) = 0
v_mfma_f32_16x16x16_bf16 a[168+0:171+0], v[vgprValuB_X1_I0+20+0+0:vgprValuB_X1_I0+20+0+0+1], v[vgprValuA_X1_I0+4+0+0:vgprValuA_X1_I0+4+0+0+1], a[168:171]
/*  mfmaIndex:99  */
_buffer_load_b128 v[vgprG2LA+0:vgprG2LA+0+3], v[vgprGlobalReadOffsetA+0], s[sgprSrdA:sgprSrdA+3], 0, offen offset:0 // G -> Reg 0_0_0_0
v_mfma_f32_16x16x16_bf16 a[172+0:175+0], v[vgprValuB_X1_I0+20+0+0:vgprValuB_X1_I0+20+0+0+1], v[vgprValuA_X1_I0+6+0+0:vgprValuA_X1_I0+6+0+0+1], a[172:175]
/*  mfmaIndex:100  */
v_mfma_f32_16x16x16_bf16 a[188+0:191+0], v[vgprValuB_X1_I0+22+0+0:vgprValuB_X1_I0+22+0+0+1], v[vgprValuA_X1_I0+6+0+0:vgprValuA_X1_I0+6+0+0+1], a[188:191]
/*  mfmaIndex:101  */
	;; [unrolled: 2-line block ×3, first 2 shown]
/* sched write - iter 1 writesPerItem=1 */
s_waitcnt vmcnt(0)                                 // lgkmcnt=-1 vmcnt=0wait for global read before writing to local
_ds_store_b128 v[vgprLocalWriteAddrA], v[vgprG2LA+4:vgprG2LA+4+3] offset:256 // lwoA_1_0_0_0 = (1*LSCA) + (0*LSPA)(*MT0I+PAD) = 256
v_mfma_f32_16x16x16_bf16 a[180+0:183+0], v[vgprValuB_X1_I0+22+0+0:vgprValuB_X1_I0+22+0+0+1], v[vgprValuA_X1_I0+2+0+0:vgprValuA_X1_I0+2+0+0+1], a[180:183]
/*  mfmaIndex:103  */
_buffer_load_b128 v[vgprG2LA+4:vgprG2LA+4+3], v[vgprGlobalReadOffsetA+0], s[sgprSrdA:sgprSrdA+3], s[sgprScalarGlobalReadOffsetA+0], offen offset:0 // G -> Reg 1_0_0_0
v_mfma_f32_16x16x16_bf16 a[176+0:179+0], v[vgprValuB_X1_I0+22+0+0:vgprValuB_X1_I0+22+0+0+1], v[vgprValuA_X1_I0+0+0+0:vgprValuA_X1_I0+0+0+0+1], a[176:179]
/*  mfmaIndex:104  */
v_mfma_f32_16x16x16_bf16 a[192+0:195+0], v[vgprValuB_X1_I0+24+0+0:vgprValuB_X1_I0+24+0+0+1], v[vgprValuA_X1_I0+0+0+0:vgprValuA_X1_I0+0+0+0+1], a[192:195]
/*  mfmaIndex:105  */
	;; [unrolled: 2-line block ×3, first 2 shown]
/* sched write - iter 1 writesPerItem=1 */
s_waitcnt vmcnt(0)                                 // lgkmcnt=-1 vmcnt=0wait for global read before writing to local
_ds_store_b128 v[vgprLocalWriteAddrA], v[vgprG2LA+8:vgprG2LA+8+3] offset:8192 // lwoA_0_0_1_0 = (0*LSCA) + (1*LSPA)(*MT0I+PAD) = 8192
v_mfma_f32_16x16x16_bf16 a[200+0:203+0], v[vgprValuB_X1_I0+24+0+0:vgprValuB_X1_I0+24+0+0+1], v[vgprValuA_X1_I0+4+0+0:vgprValuA_X1_I0+4+0+0+1], a[200:203]
/*  mfmaIndex:107  */
_buffer_load_b128 v[vgprG2LA+8:vgprG2LA+8+3], v[vgprGlobalReadOffsetA+0], s[sgprSrdA:sgprSrdA+3], s[sgprScalarGlobalReadOffsetA+1], offen offset:0 // G -> Reg 0_0_1_0
v_mfma_f32_16x16x16_bf16 a[204+0:207+0], v[vgprValuB_X1_I0+24+0+0:vgprValuB_X1_I0+24+0+0+1], v[vgprValuA_X1_I0+6+0+0:vgprValuA_X1_I0+6+0+0+1], a[204:207]
/*  mfmaIndex:108  */
v_mfma_f32_16x16x16_bf16 a[220+0:223+0], v[vgprValuB_X1_I0+26+0+0:vgprValuB_X1_I0+26+0+0+1], v[vgprValuA_X1_I0+6+0+0:vgprValuA_X1_I0+6+0+0+1], a[220:223]
/*  mfmaIndex:109  */
	;; [unrolled: 2-line block ×3, first 2 shown]
/* sched write - iter 1 writesPerItem=1 */
s_waitcnt vmcnt(0)                                 // lgkmcnt=-1 vmcnt=0wait for global read before writing to local
_ds_store_b128 v[vgprLocalWriteAddrA], v[vgprG2LA+12:vgprG2LA+12+3] offset:8448 // lwoA_1_0_1_0 = (1*LSCA) + (1*LSPA)(*MT0I+PAD) = 8448
v_mfma_f32_16x16x16_bf16 a[212+0:215+0], v[vgprValuB_X1_I0+26+0+0:vgprValuB_X1_I0+26+0+0+1], v[vgprValuA_X1_I0+2+0+0:vgprValuA_X1_I0+2+0+0+1], a[212:215]
/*  mfmaIndex:111  */
_buffer_load_b128 v[vgprG2LA+12:vgprG2LA+12+3], v[vgprGlobalReadOffsetA+0], s[sgprSrdA:sgprSrdA+3], s[sgprScalarGlobalReadOffsetA+2], offen offset:0 // G -> Reg 1_0_1_0
v_mfma_f32_16x16x16_bf16 a[208+0:211+0], v[vgprValuB_X1_I0+26+0+0:vgprValuB_X1_I0+26+0+0+1], v[vgprValuA_X1_I0+0+0+0:vgprValuA_X1_I0+0+0+0+1], a[208:211]
/* numPrefetchIter=0 */
/* dataAtIterA=0 numReadsIterA=2 skipReadsIterA=1 readsPerIterA=16 */
/* dataAtIterB=0 numReadsIterB=2 skipReadsIterB=1 readsPerIterB=14 */


/* iter 2 (reset local read pointers iteration)  (swap local read pointers iteration)  */

/*  grEndMfmaIndex:18, lwStartMfmaIndex:98, lwEndMfmaIndex:183  */
/*  numMfmaForLR:35, barrierMfmaIndex:188, LocalWritePerMfma:0.250 */
/*  mfmaIndex:112  */
/* pack scheduling: packAIdx:2, packBIdx:0 */
v_or_b32 v[vgprValuA_X2_I0+0], v[vgprValuA_X2_I0+0], v[vgprValuA_X2_I0_D1+0] // pack two half Vgpr to one Vgpr
v_or_b32 v[vgprValuA_X2_I0+1], v[vgprValuA_X2_I0+1], v[vgprValuA_X2_I0_D1+1] // pack two half Vgpr to one Vgpr
	;; [unrolled: 1-line block ×4, first 2 shown]
v_mfma_f32_16x16x16_bf16 a[0+0:3+0], v[vgprValuB_X2_I0+0+0+0:vgprValuB_X2_I0+0+0+0+1], v[vgprValuA_X2_I0+0+0+0:vgprValuA_X2_I0+0+0+0+1], a[0:3]
/*  mfmaIndex:113  */
/* pack scheduling: packAIdx:4, packBIdx:0 */
v_or_b32 v[vgprValuA_X2_I0+4], v[vgprValuA_X2_I0+4], v[vgprValuA_X2_I0_D1+4] // pack two half Vgpr to one Vgpr
v_or_b32 v[vgprValuA_X2_I0+5], v[vgprValuA_X2_I0+5], v[vgprValuA_X2_I0_D1+5] // pack two half Vgpr to one Vgpr
v_mfma_f32_16x16x16_bf16 a[4+0:7+0], v[vgprValuB_X2_I0+0+0+0:vgprValuB_X2_I0+0+0+0+1], v[vgprValuA_X2_I0+2+0+0:vgprValuA_X2_I0+2+0+0+1], a[4:7]
/*  mfmaIndex:114  */
/* sched write - iter 2 writesPerItem=1 */
s_waitcnt vmcnt(0)                                 // lgkmcnt=-1 vmcnt=0wait for global read before writing to local
_ds_store_b128 v[vgprLocalWriteAddrA], v[vgprG2LA+16:vgprG2LA+16+3] offset:16384 // lwoA_0_0_2_0 = (0*LSCA) + (2*LSPA)(*MT0I+PAD) = 16384
/* pack scheduling: packAIdx:6, packBIdx:0 */
v_or_b32 v[vgprValuA_X2_I0+6], v[vgprValuA_X2_I0+6], v[vgprValuA_X2_I0_D1+6] // pack two half Vgpr to one Vgpr
v_or_b32 v[vgprValuA_X2_I0+7], v[vgprValuA_X2_I0+7], v[vgprValuA_X2_I0_D1+7] // pack two half Vgpr to one Vgpr
v_mfma_f32_16x16x16_bf16 a[8+0:11+0], v[vgprValuB_X2_I0+0+0+0:vgprValuB_X2_I0+0+0+0+1], v[vgprValuA_X2_I0+4+0+0:vgprValuA_X2_I0+4+0+0+1], a[8:11]
/*  mfmaIndex:115  */
_buffer_load_b128 v[vgprG2LA+16:vgprG2LA+16+3], v[vgprGlobalReadOffsetA+0], s[sgprSrdA:sgprSrdA+3], s[sgprScalarGlobalReadOffsetA+3], offen offset:0 // G -> Reg 0_0_2_0
v_mfma_f32_16x16x16_bf16 a[12+0:15+0], v[vgprValuB_X2_I0+0+0+0:vgprValuB_X2_I0+0+0+0+1], v[vgprValuA_X2_I0+6+0+0:vgprValuA_X2_I0+6+0+0+1], a[12:15]
/*  mfmaIndex:116  */
v_mfma_f32_16x16x16_bf16 a[28+0:31+0], v[vgprValuB_X2_I0+2+0+0:vgprValuB_X2_I0+2+0+0+1], v[vgprValuA_X2_I0+6+0+0:vgprValuA_X2_I0+6+0+0+1], a[28:31]
/*  mfmaIndex:117  */
	;; [unrolled: 2-line block ×3, first 2 shown]
/* sched write - iter 2 writesPerItem=1 */
s_waitcnt vmcnt(0)                                 // lgkmcnt=-1 vmcnt=0wait for global read before writing to local
_ds_store_b128 v[vgprLocalWriteAddrA], v[vgprG2LA+20:vgprG2LA+20+3] offset:16640 // lwoA_1_0_2_0 = (1*LSCA) + (2*LSPA)(*MT0I+PAD) = 16640
v_mfma_f32_16x16x16_bf16 a[20+0:23+0], v[vgprValuB_X2_I0+2+0+0:vgprValuB_X2_I0+2+0+0+1], v[vgprValuA_X2_I0+2+0+0:vgprValuA_X2_I0+2+0+0+1], a[20:23]
/*  mfmaIndex:119  */
_buffer_load_b128 v[vgprG2LA+20:vgprG2LA+20+3], v[vgprGlobalReadOffsetA+0], s[sgprSrdA:sgprSrdA+3], s[sgprScalarGlobalReadOffsetA+4], offen offset:0 // G -> Reg 1_0_2_0
v_mfma_f32_16x16x16_bf16 a[16+0:19+0], v[vgprValuB_X2_I0+2+0+0:vgprValuB_X2_I0+2+0+0+1], v[vgprValuA_X2_I0+0+0+0:vgprValuA_X2_I0+0+0+0+1], a[16:19]
/*  mfmaIndex:120  */
v_mfma_f32_16x16x16_bf16 a[32+0:35+0], v[vgprValuB_X2_I0+4+0+0:vgprValuB_X2_I0+4+0+0+1], v[vgprValuA_X2_I0+0+0+0:vgprValuA_X2_I0+0+0+0+1], a[32:35]
/*  mfmaIndex:121  */
	;; [unrolled: 2-line block ×3, first 2 shown]
/* sched write - iter 2 writesPerItem=1 */
s_waitcnt vmcnt(0)                                 // lgkmcnt=-1 vmcnt=0wait for global read before writing to local
_ds_store_b128 v[vgprLocalWriteAddrA], v[vgprG2LA+24:vgprG2LA+24+3] offset:24576 // lwoA_0_0_3_0 = (0*LSCA) + (3*LSPA)(*MT0I+PAD) = 24576
v_mfma_f32_16x16x16_bf16 a[40+0:43+0], v[vgprValuB_X2_I0+4+0+0:vgprValuB_X2_I0+4+0+0+1], v[vgprValuA_X2_I0+4+0+0:vgprValuA_X2_I0+4+0+0+1], a[40:43]
/*  mfmaIndex:123  */
_buffer_load_b128 v[vgprG2LA+24:vgprG2LA+24+3], v[vgprGlobalReadOffsetA+0], s[sgprSrdA:sgprSrdA+3], s[sgprScalarGlobalReadOffsetA+5], offen offset:0 // G -> Reg 0_0_3_0
v_mfma_f32_16x16x16_bf16 a[44+0:47+0], v[vgprValuB_X2_I0+4+0+0:vgprValuB_X2_I0+4+0+0+1], v[vgprValuA_X2_I0+6+0+0:vgprValuA_X2_I0+6+0+0+1], a[44:47]
/*  mfmaIndex:124  */
v_mfma_f32_16x16x16_bf16 a[60+0:63+0], v[vgprValuB_X2_I0+6+0+0:vgprValuB_X2_I0+6+0+0+1], v[vgprValuA_X2_I0+6+0+0:vgprValuA_X2_I0+6+0+0+1], a[60:63]
/*  mfmaIndex:125  */
	;; [unrolled: 2-line block ×3, first 2 shown]
/* sched write - iter 2 writesPerItem=1 */
s_waitcnt vmcnt(0)                                 // lgkmcnt=-1 vmcnt=0wait for global read before writing to local
_ds_store_b128 v[vgprLocalWriteAddrA], v[vgprG2LA+28:vgprG2LA+28+3] offset:24832 // lwoA_1_0_3_0 = (1*LSCA) + (3*LSPA)(*MT0I+PAD) = 24832
v_mfma_f32_16x16x16_bf16 a[52+0:55+0], v[vgprValuB_X2_I0+6+0+0:vgprValuB_X2_I0+6+0+0+1], v[vgprValuA_X2_I0+2+0+0:vgprValuA_X2_I0+2+0+0+1], a[52:55]
/*  mfmaIndex:127  */
_buffer_load_b128 v[vgprG2LA+28:vgprG2LA+28+3], v[vgprGlobalReadOffsetA+0], s[sgprSrdA:sgprSrdA+3], s[sgprScalarGlobalReadOffsetA+6], offen offset:0 // G -> Reg 1_0_3_0
v_mfma_f32_16x16x16_bf16 a[48+0:51+0], v[vgprValuB_X2_I0+6+0+0:vgprValuB_X2_I0+6+0+0+1], v[vgprValuA_X2_I0+0+0+0:vgprValuA_X2_I0+0+0+0+1], a[48:51]
/*  mfmaIndex:128  */
v_mfma_f32_16x16x16_bf16 a[64+0:67+0], v[vgprValuB_X2_I0+8+0+0:vgprValuB_X2_I0+8+0+0+1], v[vgprValuA_X2_I0+0+0+0:vgprValuA_X2_I0+0+0+0+1], a[64:67]
/*  mfmaIndex:129  */
v_mfma_f32_16x16x16_bf16 a[68+0:71+0], v[vgprValuB_X2_I0+8+0+0:vgprValuB_X2_I0+8+0+0+1], v[vgprValuA_X2_I0+2+0+0:vgprValuA_X2_I0+2+0+0+1], a[68:71]
/*  mfmaIndex:130  */
/* sched write - iter 2 writesPerItem=1 */
s_waitcnt vmcnt(0)                                 // lgkmcnt=-1 vmcnt=0wait for global read before writing to local
_ds_store_b64 v[vgprLocalWriteAddrB], v[vgprG2LB+0:vgprG2LB+0+1] offset:0 // lwoB_0_0_0_0 = (0*LSCB)*(MT1J+PAD) + (0*LSPB) = 0
v_mfma_f32_16x16x16_bf16 a[72+0:75+0], v[vgprValuB_X2_I0+8+0+0:vgprValuB_X2_I0+8+0+0+1], v[vgprValuA_X2_I0+4+0+0:vgprValuA_X2_I0+4+0+0+1], a[72:75]
/*  mfmaIndex:131  */
_buffer_load_b64 v[vgprG2LB+0:vgprG2LB+0+1], v[vgprGlobalReadOffsetB+0], s[sgprSrdB:sgprSrdB+3], 0, offen offset:0 // G -> Reg 0_0_0_0
v_mfma_f32_16x16x16_bf16 a[76+0:79+0], v[vgprValuB_X2_I0+8+0+0:vgprValuB_X2_I0+8+0+0+1], v[vgprValuA_X2_I0+6+0+0:vgprValuA_X2_I0+6+0+0+1], a[76:79]
/*  mfmaIndex:132  */
v_mfma_f32_16x16x16_bf16 a[92+0:95+0], v[vgprValuB_X2_I0+10+0+0:vgprValuB_X2_I0+10+0+0+1], v[vgprValuA_X2_I0+6+0+0:vgprValuA_X2_I0+6+0+0+1], a[92:95]
/*  mfmaIndex:133  */
	;; [unrolled: 2-line block ×3, first 2 shown]
/* sched write - iter 2 writesPerItem=1 */
s_waitcnt vmcnt(0)                                 // lgkmcnt=-1 vmcnt=0wait for global read before writing to local
_ds_store_b64 v[vgprLocalWriteAddrB], v[vgprG2LB+2:vgprG2LB+2+1] offset:2176 // lwoB_0_0_1_0 = (0*LSCB)*(MT1J+PAD) + (1*LSPB) = 2176
v_mfma_f32_16x16x16_bf16 a[84+0:87+0], v[vgprValuB_X2_I0+10+0+0:vgprValuB_X2_I0+10+0+0+1], v[vgprValuA_X2_I0+2+0+0:vgprValuA_X2_I0+2+0+0+1], a[84:87]
/*  mfmaIndex:135  */
_buffer_load_b64 v[vgprG2LB+2:vgprG2LB+2+1], v[vgprGlobalReadOffsetB+0], s[sgprSrdB:sgprSrdB+3], s[sgprScalarGlobalReadOffsetB+0], offen offset:0 // G -> Reg 0_0_1_0
v_mfma_f32_16x16x16_bf16 a[80+0:83+0], v[vgprValuB_X2_I0+10+0+0:vgprValuB_X2_I0+10+0+0+1], v[vgprValuA_X2_I0+0+0+0:vgprValuA_X2_I0+0+0+0+1], a[80:83]
/*  mfmaIndex:136  */
v_mfma_f32_16x16x16_bf16 a[96+0:99+0], v[vgprValuB_X2_I0+12+0+0:vgprValuB_X2_I0+12+0+0+1], v[vgprValuA_X2_I0+0+0+0:vgprValuA_X2_I0+0+0+0+1], a[96:99]
/*  mfmaIndex:137  */
	;; [unrolled: 2-line block ×3, first 2 shown]
/* sched write - iter 2 writesPerItem=1 */
s_waitcnt vmcnt(0)                                 // lgkmcnt=-1 vmcnt=0wait for global read before writing to local
_ds_store_b64 v[vgprLocalWriteAddrB], v[vgprG2LB+4:vgprG2LB+4+1] offset:4352 // lwoB_0_0_2_0 = (0*LSCB)*(MT1J+PAD) + (2*LSPB) = 4352
v_mfma_f32_16x16x16_bf16 a[104+0:107+0], v[vgprValuB_X2_I0+12+0+0:vgprValuB_X2_I0+12+0+0+1], v[vgprValuA_X2_I0+4+0+0:vgprValuA_X2_I0+4+0+0+1], a[104:107]
/*  mfmaIndex:139  */
_buffer_load_b64 v[vgprG2LB+4:vgprG2LB+4+1], v[vgprGlobalReadOffsetB+0], s[sgprSrdB:sgprSrdB+3], s[sgprScalarGlobalReadOffsetB+1], offen offset:0 // G -> Reg 0_0_2_0
v_mfma_f32_16x16x16_bf16 a[108+0:111+0], v[vgprValuB_X2_I0+12+0+0:vgprValuB_X2_I0+12+0+0+1], v[vgprValuA_X2_I0+6+0+0:vgprValuA_X2_I0+6+0+0+1], a[108:111]
/*  mfmaIndex:140  */
v_mfma_f32_16x16x16_bf16 a[124+0:127+0], v[vgprValuB_X2_I0+14+0+0:vgprValuB_X2_I0+14+0+0+1], v[vgprValuA_X2_I0+6+0+0:vgprValuA_X2_I0+6+0+0+1], a[124:127]
/*  mfmaIndex:141  */
	;; [unrolled: 2-line block ×3, first 2 shown]
/* sched write - iter 2 writesPerItem=1 */
s_waitcnt vmcnt(0)                                 // lgkmcnt=-1 vmcnt=0wait for global read before writing to local
_ds_store_b64 v[vgprLocalWriteAddrB], v[vgprG2LB+6:vgprG2LB+6+1] offset:6528 // lwoB_0_0_3_0 = (0*LSCB)*(MT1J+PAD) + (3*LSPB) = 6528
v_mfma_f32_16x16x16_bf16 a[116+0:119+0], v[vgprValuB_X2_I0+14+0+0:vgprValuB_X2_I0+14+0+0+1], v[vgprValuA_X2_I0+2+0+0:vgprValuA_X2_I0+2+0+0+1], a[116:119]
/*  mfmaIndex:143  */
_buffer_load_b64 v[vgprG2LB+6:vgprG2LB+6+1], v[vgprGlobalReadOffsetB+0], s[sgprSrdB:sgprSrdB+3], s[sgprScalarGlobalReadOffsetB+2], offen offset:0 // G -> Reg 0_0_3_0
v_mfma_f32_16x16x16_bf16 a[112+0:115+0], v[vgprValuB_X2_I0+14+0+0:vgprValuB_X2_I0+14+0+0+1], v[vgprValuA_X2_I0+0+0+0:vgprValuA_X2_I0+0+0+0+1], a[112:115]
/*  mfmaIndex:144  */
v_mfma_f32_16x16x16_bf16 a[128+0:131+0], v[vgprValuB_X2_I0+16+0+0:vgprValuB_X2_I0+16+0+0+1], v[vgprValuA_X2_I0+0+0+0:vgprValuA_X2_I0+0+0+0+1], a[128:131]
/*  mfmaIndex:145  */
	;; [unrolled: 2-line block ×3, first 2 shown]
/* sched write - iter 2 writesPerItem=1 */
s_waitcnt vmcnt(0)                                 // lgkmcnt=-1 vmcnt=0wait for global read before writing to local
_ds_store_b64 v[vgprLocalWriteAddrB], v[vgprG2LB+8:vgprG2LB+8+1] offset:8704 // lwoB_0_0_4_0 = (0*LSCB)*(MT1J+PAD) + (4*LSPB) = 8704
v_mfma_f32_16x16x16_bf16 a[136+0:139+0], v[vgprValuB_X2_I0+16+0+0:vgprValuB_X2_I0+16+0+0+1], v[vgprValuA_X2_I0+4+0+0:vgprValuA_X2_I0+4+0+0+1], a[136:139]
/*  mfmaIndex:147  */
_buffer_load_b64 v[vgprG2LB+8:vgprG2LB+8+1], v[vgprGlobalReadOffsetB+0], s[sgprSrdB:sgprSrdB+3], s[sgprScalarGlobalReadOffsetB+3], offen offset:0 // G -> Reg 0_0_4_0
v_mfma_f32_16x16x16_bf16 a[140+0:143+0], v[vgprValuB_X2_I0+16+0+0:vgprValuB_X2_I0+16+0+0+1], v[vgprValuA_X2_I0+6+0+0:vgprValuA_X2_I0+6+0+0+1], a[140:143]
/*  mfmaIndex:148  */
v_mfma_f32_16x16x16_bf16 a[156+0:159+0], v[vgprValuB_X2_I0+18+0+0:vgprValuB_X2_I0+18+0+0+1], v[vgprValuA_X2_I0+6+0+0:vgprValuA_X2_I0+6+0+0+1], a[156:159]
/*  mfmaIndex:149  */
	;; [unrolled: 2-line block ×3, first 2 shown]
/* sched write - iter 2 writesPerItem=1 */
s_waitcnt vmcnt(0)                                 // lgkmcnt=-1 vmcnt=0wait for global read before writing to local
_ds_store_b64 v[vgprLocalWriteAddrB], v[vgprG2LB+10:vgprG2LB+10+1] offset:10880 // lwoB_0_0_5_0 = (0*LSCB)*(MT1J+PAD) + (5*LSPB) = 10880
v_mfma_f32_16x16x16_bf16 a[148+0:151+0], v[vgprValuB_X2_I0+18+0+0:vgprValuB_X2_I0+18+0+0+1], v[vgprValuA_X2_I0+2+0+0:vgprValuA_X2_I0+2+0+0+1], a[148:151]
/*  mfmaIndex:151  */
_buffer_load_b64 v[vgprG2LB+10:vgprG2LB+10+1], v[vgprGlobalReadOffsetB+0], s[sgprSrdB:sgprSrdB+3], s[sgprScalarGlobalReadOffsetB+4], offen offset:0 // G -> Reg 0_0_5_0
v_mfma_f32_16x16x16_bf16 a[144+0:147+0], v[vgprValuB_X2_I0+18+0+0:vgprValuB_X2_I0+18+0+0+1], v[vgprValuA_X2_I0+0+0+0:vgprValuA_X2_I0+0+0+0+1], a[144:147]
/*  mfmaIndex:152  */
v_mfma_f32_16x16x16_bf16 a[160+0:163+0], v[vgprValuB_X2_I0+20+0+0:vgprValuB_X2_I0+20+0+0+1], v[vgprValuA_X2_I0+0+0+0:vgprValuA_X2_I0+0+0+0+1], a[160:163]
/*  mfmaIndex:153  */
v_mfma_f32_16x16x16_bf16 a[164+0:167+0], v[vgprValuB_X2_I0+20+0+0:vgprValuB_X2_I0+20+0+0+1], v[vgprValuA_X2_I0+2+0+0:vgprValuA_X2_I0+2+0+0+1], a[164:167]
/*  mfmaIndex:154  */
/* sched write - iter 2 writesPerItem=1 */
s_waitcnt vmcnt(0)                                 // lgkmcnt=-1 vmcnt=0wait for global read before writing to local
_ds_store_b64 v[vgprLocalWriteAddrB], v[vgprG2LB+12:vgprG2LB+12+1] offset:13056 // lwoB_0_0_6_0 = (0*LSCB)*(MT1J+PAD) + (6*LSPB) = 13056
v_mfma_f32_16x16x16_bf16 a[168+0:171+0], v[vgprValuB_X2_I0+20+0+0:vgprValuB_X2_I0+20+0+0+1], v[vgprValuA_X2_I0+4+0+0:vgprValuA_X2_I0+4+0+0+1], a[168:171]
/*  mfmaIndex:155  */
_buffer_load_b64 v[vgprG2LB+12:vgprG2LB+12+1], v[vgprGlobalReadOffsetB+0], s[sgprSrdB:sgprSrdB+3], s[sgprScalarGlobalReadOffsetB+5], offen offset:0 // G -> Reg 0_0_6_0
v_mfma_f32_16x16x16_bf16 a[172+0:175+0], v[vgprValuB_X2_I0+20+0+0:vgprValuB_X2_I0+20+0+0+1], v[vgprValuA_X2_I0+6+0+0:vgprValuA_X2_I0+6+0+0+1], a[172:175]
/*  mfmaIndex:156  */
v_mfma_f32_16x16x16_bf16 a[188+0:191+0], v[vgprValuB_X2_I0+22+0+0:vgprValuB_X2_I0+22+0+0+1], v[vgprValuA_X2_I0+6+0+0:vgprValuA_X2_I0+6+0+0+1], a[188:191]
/*  mfmaIndex:157  */
	;; [unrolled: 2-line block ×3, first 2 shown]
/* sched write - iter 2 writesPerItem=1 */
s_waitcnt vmcnt(0)                                 // lgkmcnt=-1 vmcnt=0wait for global read before writing to local
_ds_store_b64 v[vgprLocalWriteAddrB], v[vgprG2LB+14:vgprG2LB+14+1] offset:15232 // lwoB_0_0_7_0 = (0*LSCB)*(MT1J+PAD) + (7*LSPB) = 15232
v_mfma_f32_16x16x16_bf16 a[180+0:183+0], v[vgprValuB_X2_I0+22+0+0:vgprValuB_X2_I0+22+0+0+1], v[vgprValuA_X2_I0+2+0+0:vgprValuA_X2_I0+2+0+0+1], a[180:183]
/*  mfmaIndex:159  */
_buffer_load_b64 v[vgprG2LB+14:vgprG2LB+14+1], v[vgprGlobalReadOffsetB+0], s[sgprSrdB:sgprSrdB+3], s[sgprScalarGlobalReadOffsetB+6], offen offset:0 // G -> Reg 0_0_7_0
v_mfma_f32_16x16x16_bf16 a[176+0:179+0], v[vgprValuB_X2_I0+22+0+0:vgprValuB_X2_I0+22+0+0+1], v[vgprValuA_X2_I0+0+0+0:vgprValuA_X2_I0+0+0+0+1], a[176:179]
/*  mfmaIndex:160  */
v_mfma_f32_16x16x16_bf16 a[192+0:195+0], v[vgprValuB_X2_I0+24+0+0:vgprValuB_X2_I0+24+0+0+1], v[vgprValuA_X2_I0+0+0+0:vgprValuA_X2_I0+0+0+0+1], a[192:195]
/*  mfmaIndex:161  */
	;; [unrolled: 2-line block ×3, first 2 shown]
/* sched write - iter 2 writesPerItem=1 */
s_waitcnt vmcnt(0)                                 // lgkmcnt=-1 vmcnt=0wait for global read before writing to local
_ds_store_b64 v[vgprLocalWriteAddrB], v[vgprG2LB+16:vgprG2LB+16+1] offset:17408 // lwoB_0_0_8_0 = (0*LSCB)*(MT1J+PAD) + (8*LSPB) = 17408
v_mfma_f32_16x16x16_bf16 a[200+0:203+0], v[vgprValuB_X2_I0+24+0+0:vgprValuB_X2_I0+24+0+0+1], v[vgprValuA_X2_I0+4+0+0:vgprValuA_X2_I0+4+0+0+1], a[200:203]
/*  mfmaIndex:163  */
_buffer_load_b64 v[vgprG2LB+16:vgprG2LB+16+1], v[vgprGlobalReadOffsetB+0], s[sgprSrdB:sgprSrdB+3], s[sgprScalarGlobalReadOffsetB+7], offen offset:0 // G -> Reg 0_0_8_0
v_mfma_f32_16x16x16_bf16 a[204+0:207+0], v[vgprValuB_X2_I0+24+0+0:vgprValuB_X2_I0+24+0+0+1], v[vgprValuA_X2_I0+6+0+0:vgprValuA_X2_I0+6+0+0+1], a[204:207]
/*  mfmaIndex:164  */
v_mfma_f32_16x16x16_bf16 a[220+0:223+0], v[vgprValuB_X2_I0+26+0+0:vgprValuB_X2_I0+26+0+0+1], v[vgprValuA_X2_I0+6+0+0:vgprValuA_X2_I0+6+0+0+1], a[220:223]
/*  mfmaIndex:165  */
	;; [unrolled: 2-line block ×3, first 2 shown]
/* sched write - iter 2 writesPerItem=1 */
s_waitcnt vmcnt(0)                                 // lgkmcnt=-1 vmcnt=0wait for global read before writing to local
_ds_store_b64 v[vgprLocalWriteAddrB], v[vgprG2LB+18:vgprG2LB+18+1] offset:19584 // lwoB_0_0_9_0 = (0*LSCB)*(MT1J+PAD) + (9*LSPB) = 19584
v_mfma_f32_16x16x16_bf16 a[212+0:215+0], v[vgprValuB_X2_I0+26+0+0:vgprValuB_X2_I0+26+0+0+1], v[vgprValuA_X2_I0+2+0+0:vgprValuA_X2_I0+2+0+0+1], a[212:215]
/*  mfmaIndex:167  */
_buffer_load_b64 v[vgprG2LB+18:vgprG2LB+18+1], v[vgprGlobalReadOffsetB+0], s[sgprSrdB:sgprSrdB+3], s[sgprScalarGlobalReadOffsetB+8], offen offset:0 // G -> Reg 0_0_9_0

/* local read swap offsets a */

/* local read swap offsets b */

/* local read init pointers a */

/* localReadInitPointers */

/* local read init pointers b */

/* localReadInitPointers */
v_mfma_f32_16x16x16_bf16 a[208+0:211+0], v[vgprValuB_X2_I0+26+0+0:vgprValuB_X2_I0+26+0+0+1], v[vgprValuA_X2_I0+0+0+0:vgprValuA_X2_I0+0+0+0+1], a[208:211]


/* iter 3 (swap and reset local write pointers iteration)  */

/*  grEndMfmaIndex:18, lwStartMfmaIndex:98, lwEndMfmaIndex:183  */
/*  numMfmaForLR:35, barrierMfmaIndex:188, LocalWritePerMfma:0.250 */
/*  mfmaIndex:168  */
/* pack scheduling: packAIdx:2, packBIdx:0 */
v_or_b32 v[vgprValuA_X3_I0+0], v[vgprValuA_X3_I0+0], v[vgprValuA_X3_I0_D1+0] // pack two half Vgpr to one Vgpr
v_or_b32 v[vgprValuA_X3_I0+1], v[vgprValuA_X3_I0+1], v[vgprValuA_X3_I0_D1+1] // pack two half Vgpr to one Vgpr
	;; [unrolled: 1-line block ×4, first 2 shown]
v_mfma_f32_16x16x16_bf16 a[0+0:3+0], v[vgprValuB_X3_I0+0+0+0:vgprValuB_X3_I0+0+0+0+1], v[vgprValuA_X3_I0+0+0+0:vgprValuA_X3_I0+0+0+0+1], a[0:3]
/*  mfmaIndex:169  */
/* pack scheduling: packAIdx:4, packBIdx:0 */
v_or_b32 v[vgprValuA_X3_I0+4], v[vgprValuA_X3_I0+4], v[vgprValuA_X3_I0_D1+4] // pack two half Vgpr to one Vgpr
v_or_b32 v[vgprValuA_X3_I0+5], v[vgprValuA_X3_I0+5], v[vgprValuA_X3_I0_D1+5] // pack two half Vgpr to one Vgpr
v_mfma_f32_16x16x16_bf16 a[4+0:7+0], v[vgprValuB_X3_I0+0+0+0:vgprValuB_X3_I0+0+0+0+1], v[vgprValuA_X3_I0+2+0+0:vgprValuA_X3_I0+2+0+0+1], a[4:7]
/*  mfmaIndex:170  */
/* sched write - iter 3 writesPerItem=1 */
s_waitcnt vmcnt(0)                                 // lgkmcnt=-1 vmcnt=0wait for global read before writing to local
_ds_store_b64 v[vgprLocalWriteAddrB], v[vgprG2LB+20:vgprG2LB+20+1] offset:21760 // lwoB_0_0_10_0 = (0*LSCB)*(MT1J+PAD) + (10*LSPB) = 21760
/* pack scheduling: packAIdx:6, packBIdx:0 */
v_or_b32 v[vgprValuA_X3_I0+6], v[vgprValuA_X3_I0+6], v[vgprValuA_X3_I0_D1+6] // pack two half Vgpr to one Vgpr
v_or_b32 v[vgprValuA_X3_I0+7], v[vgprValuA_X3_I0+7], v[vgprValuA_X3_I0_D1+7] // pack two half Vgpr to one Vgpr
v_mfma_f32_16x16x16_bf16 a[8+0:11+0], v[vgprValuB_X3_I0+0+0+0:vgprValuB_X3_I0+0+0+0+1], v[vgprValuA_X3_I0+4+0+0:vgprValuA_X3_I0+4+0+0+1], a[8:11]
/*  mfmaIndex:171  */
_buffer_load_b64 v[vgprG2LB+20:vgprG2LB+20+1], v[vgprGlobalReadOffsetB+0], s[sgprSrdB:sgprSrdB+3], s[sgprScalarGlobalReadOffsetB+9], offen offset:0 // G -> Reg 0_0_10_0
v_mfma_f32_16x16x16_bf16 a[12+0:15+0], v[vgprValuB_X3_I0+0+0+0:vgprValuB_X3_I0+0+0+0+1], v[vgprValuA_X3_I0+6+0+0:vgprValuA_X3_I0+6+0+0+1], a[12:15]
/*  mfmaIndex:172  */
v_mfma_f32_16x16x16_bf16 a[28+0:31+0], v[vgprValuB_X3_I0+2+0+0:vgprValuB_X3_I0+2+0+0+1], v[vgprValuA_X3_I0+6+0+0:vgprValuA_X3_I0+6+0+0+1], a[28:31]
/*  mfmaIndex:173  */
	;; [unrolled: 2-line block ×3, first 2 shown]
/* sched write - iter 3 writesPerItem=1 */
s_waitcnt vmcnt(0)                                 // lgkmcnt=-1 vmcnt=0wait for global read before writing to local
_ds_store_b64 v[vgprLocalWriteAddrB], v[vgprG2LB+22:vgprG2LB+22+1] offset:23936 // lwoB_0_0_11_0 = (0*LSCB)*(MT1J+PAD) + (11*LSPB) = 23936
v_mfma_f32_16x16x16_bf16 a[20+0:23+0], v[vgprValuB_X3_I0+2+0+0:vgprValuB_X3_I0+2+0+0+1], v[vgprValuA_X3_I0+2+0+0:vgprValuA_X3_I0+2+0+0+1], a[20:23]
/*  mfmaIndex:175  */
_buffer_load_b64 v[vgprG2LB+22:vgprG2LB+22+1], v[vgprGlobalReadOffsetB+0], s[sgprSrdB:sgprSrdB+3], s[sgprScalarGlobalReadOffsetB+10], offen offset:0 // G -> Reg 0_0_11_0
v_mfma_f32_16x16x16_bf16 a[16+0:19+0], v[vgprValuB_X3_I0+2+0+0:vgprValuB_X3_I0+2+0+0+1], v[vgprValuA_X3_I0+0+0+0:vgprValuA_X3_I0+0+0+0+1], a[16:19]
/*  mfmaIndex:176  */
v_mfma_f32_16x16x16_bf16 a[32+0:35+0], v[vgprValuB_X3_I0+4+0+0:vgprValuB_X3_I0+4+0+0+1], v[vgprValuA_X3_I0+0+0+0:vgprValuA_X3_I0+0+0+0+1], a[32:35]
/*  mfmaIndex:177  */
	;; [unrolled: 2-line block ×3, first 2 shown]
/* sched write - iter 3 writesPerItem=1 */
s_waitcnt vmcnt(0)                                 // lgkmcnt=-1 vmcnt=0wait for global read before writing to local
_ds_store_b64 v[vgprLocalWriteAddrB], v[vgprG2LB+24:vgprG2LB+24+1] offset:26112 // lwoB_0_0_12_0 = (0*LSCB)*(MT1J+PAD) + (12*LSPB) = 26112
v_mfma_f32_16x16x16_bf16 a[40+0:43+0], v[vgprValuB_X3_I0+4+0+0:vgprValuB_X3_I0+4+0+0+1], v[vgprValuA_X3_I0+4+0+0:vgprValuA_X3_I0+4+0+0+1], a[40:43]
/*  mfmaIndex:179  */
_buffer_load_b64 v[vgprG2LB+24:vgprG2LB+24+1], v[vgprGlobalReadOffsetB+0], s[sgprSrdB:sgprSrdB+3], s[sgprScalarGlobalReadOffsetB+11], offen offset:0 // G -> Reg 0_0_12_0
v_mfma_f32_16x16x16_bf16 a[44+0:47+0], v[vgprValuB_X3_I0+4+0+0:vgprValuB_X3_I0+4+0+0+1], v[vgprValuA_X3_I0+6+0+0:vgprValuA_X3_I0+6+0+0+1], a[44:47]
/*  mfmaIndex:180  */
v_mfma_f32_16x16x16_bf16 a[60+0:63+0], v[vgprValuB_X3_I0+6+0+0:vgprValuB_X3_I0+6+0+0+1], v[vgprValuA_X3_I0+6+0+0:vgprValuA_X3_I0+6+0+0+1], a[60:63]
/*  mfmaIndex:181  */
	;; [unrolled: 2-line block ×3, first 2 shown]
/* sched write - iter 3 writesPerItem=1 */
s_waitcnt vmcnt(0)                                 // lgkmcnt=-1 vmcnt=0wait for global read before writing to local
_ds_store_b64 v[vgprLocalWriteAddrB], v[vgprG2LB+26:vgprG2LB+26+1] offset:28288 // lwoB_0_0_13_0 = (0*LSCB)*(MT1J+PAD) + (13*LSPB) = 28288
v_mfma_f32_16x16x16_bf16 a[52+0:55+0], v[vgprValuB_X3_I0+6+0+0:vgprValuB_X3_I0+6+0+0+1], v[vgprValuA_X3_I0+2+0+0:vgprValuA_X3_I0+2+0+0+1], a[52:55]
/*  mfmaIndex:183  */
_buffer_load_b64 v[vgprG2LB+26:vgprG2LB+26+1], v[vgprGlobalReadOffsetB+0], s[sgprSrdB:sgprSrdB+3], s[sgprScalarGlobalReadOffsetB+12], offen offset:0 // G -> Reg 0_0_13_0

/* local write swap offsets a */

/* local write swap offsets b */
v_mfma_f32_16x16x16_bf16 a[48+0:51+0], v[vgprValuB_X3_I0+6+0+0:vgprValuB_X3_I0+6+0+0+1], v[vgprValuA_X3_I0+0+0+0:vgprValuA_X3_I0+0+0+0+1], a[48:51]
/*  mfmaIndex:184  */
v_mfma_f32_16x16x16_bf16 a[64+0:67+0], v[vgprValuB_X3_I0+8+0+0:vgprValuB_X3_I0+8+0+0+1], v[vgprValuA_X3_I0+0+0+0:vgprValuA_X3_I0+0+0+0+1], a[64:67]
/*  mfmaIndex:185  */
	;; [unrolled: 2-line block ×4, first 2 shown]
v_mfma_f32_16x16x16_bf16 a[76+0:79+0], v[vgprValuB_X3_I0+8+0+0:vgprValuB_X3_I0+8+0+0+1], v[vgprValuA_X3_I0+6+0+0:vgprValuA_X3_I0+6+0+0+1], a[76:79]
s_setprio 0                                        // store optimization
/*  mfmaIndex:188  */
s_waitcnt lgkmcnt(0)                               // lgkmcnt=0 vmcnt=-13wait for local write
// Skip force waitcnt0
s_barrier //
v_mfma_f32_16x16x16_bf16 a[92+0:95+0], v[vgprValuB_X3_I0+10+0+0:vgprValuB_X3_I0+10+0+0+1], v[vgprValuA_X3_I0+6+0+0:vgprValuA_X3_I0+6+0+0+1], a[92:95]
/*  mfmaIndex:189  */
s_setprio 3                                        // store optimization
_ds_load_u16 v[vgprValuA_X0_I0+0], v[vgprLocalReadAddrA] offset:0 // L -> Reg lro=0 swapByteOffset=0 ti=256 vIdx=0 rIdx=0 oIdx=0 buffer=0 iui=0
v_mfma_f32_16x16x16_bf16 a[88+0:91+0], v[vgprValuB_X3_I0+10+0+0:vgprValuB_X3_I0+10+0+0+1], v[vgprValuA_X3_I0+4+0+0:vgprValuA_X3_I0+4+0+0+1], a[88:91]
/*  mfmaIndex:190  */
_ds_load_u16_d16_hi v[vgprValuA_X0_I0_D1+0], v[vgprLocalReadAddrA] offset:512 // L -> Reg lro=0 swapByteOffset=0 ti=256 vIdx=0 rIdx=1 oIdx=0 buffer=0 iui=0
v_mfma_f32_16x16x16_bf16 a[84+0:87+0], v[vgprValuB_X3_I0+10+0+0:vgprValuB_X3_I0+10+0+0+1], v[vgprValuA_X3_I0+2+0+0:vgprValuA_X3_I0+2+0+0+1], a[84:87]
/*  mfmaIndex:191  */
_ds_load_u16 v[vgprValuA_X0_I0+1], v[vgprLocalReadAddrA] offset:1024 // L -> Reg lro=0 swapByteOffset=0 ti=256 vIdx=0 rIdx=2 oIdx=0 buffer=0 iui=0
v_mfma_f32_16x16x16_bf16 a[80+0:83+0], v[vgprValuB_X3_I0+10+0+0:vgprValuB_X3_I0+10+0+0+1], v[vgprValuA_X3_I0+0+0+0:vgprValuA_X3_I0+0+0+0+1], a[80:83]
/*  mfmaIndex:192  */
_ds_load_u16_d16_hi v[vgprValuA_X0_I0_D1+1], v[vgprLocalReadAddrA] offset:1536 // L -> Reg lro=0 swapByteOffset=0 ti=256 vIdx=0 rIdx=3 oIdx=0 buffer=0 iui=0
v_mfma_f32_16x16x16_bf16 a[96+0:99+0], v[vgprValuB_X3_I0+12+0+0:vgprValuB_X3_I0+12+0+0+1], v[vgprValuA_X3_I0+0+0+0:vgprValuA_X3_I0+0+0+0+1], a[96:99]
/*  mfmaIndex:193  */
_ds_load_b64 v[vgprValuB_X0_I0+0:vgprValuB_X0_I0+0+1], v[vgprLocalReadAddrB] offset:0 // L -> Reg lro=0 swapByteOffset=0 ti=16 vIdx=0 rIdx=0 oIdx=0 buffer=0 iui=0
v_mfma_f32_16x16x16_bf16 a[100+0:103+0], v[vgprValuB_X3_I0+12+0+0:vgprValuB_X3_I0+12+0+0+1], v[vgprValuA_X3_I0+2+0+0:vgprValuA_X3_I0+2+0+0+1], a[100:103]
/*  mfmaIndex:194  */
_ds_load_u16 v[vgprValuA_X0_I0+2], v[vgprLocalReadAddrA] offset:2 // L -> Reg lro=0 swapByteOffset=0 ti=256 vIdx=0 rIdx=0 oIdx=0 buffer=0 iui=0
v_mfma_f32_16x16x16_bf16 a[104+0:107+0], v[vgprValuB_X3_I0+12+0+0:vgprValuB_X3_I0+12+0+0+1], v[vgprValuA_X3_I0+4+0+0:vgprValuA_X3_I0+4+0+0+1], a[104:107]
/*  mfmaIndex:195  */
_ds_load_u16_d16_hi v[vgprValuA_X0_I0_D1+2], v[vgprLocalReadAddrA] offset:514 // L -> Reg lro=0 swapByteOffset=0 ti=256 vIdx=0 rIdx=1 oIdx=0 buffer=0 iui=0
v_mfma_f32_16x16x16_bf16 a[108+0:111+0], v[vgprValuB_X3_I0+12+0+0:vgprValuB_X3_I0+12+0+0+1], v[vgprValuA_X3_I0+6+0+0:vgprValuA_X3_I0+6+0+0+1], a[108:111]
/*  mfmaIndex:196  */
_ds_load_u16 v[vgprValuA_X0_I0+3], v[vgprLocalReadAddrA] offset:1026 // L -> Reg lro=0 swapByteOffset=0 ti=256 vIdx=0 rIdx=2 oIdx=0 buffer=0 iui=0
v_mfma_f32_16x16x16_bf16 a[124+0:127+0], v[vgprValuB_X3_I0+14+0+0:vgprValuB_X3_I0+14+0+0+1], v[vgprValuA_X3_I0+6+0+0:vgprValuA_X3_I0+6+0+0+1], a[124:127]
/*  mfmaIndex:197  */
_ds_load_u16_d16_hi v[vgprValuA_X0_I0_D1+3], v[vgprLocalReadAddrA] offset:1538 // L -> Reg lro=0 swapByteOffset=0 ti=256 vIdx=0 rIdx=3 oIdx=0 buffer=0 iui=0
	;; [unrolled: 6-line block ×6, first 2 shown]
v_mfma_f32_16x16x16_bf16 a[152+0:155+0], v[vgprValuB_X3_I0+18+0+0:vgprValuB_X3_I0+18+0+0+1], v[vgprValuA_X3_I0+4+0+0:vgprValuA_X3_I0+4+0+0+1], a[152:155]
/*  mfmaIndex:206  */
_ds_load_b64 v[vgprValuB_X0_I0+2:vgprValuB_X0_I0+2+1], v[vgprLocalReadAddrB] offset:2176 // L -> Reg lro=0 swapByteOffset=0 ti=16 vIdx=1 rIdx=0 oIdx=0 buffer=0 iui=0
v_mfma_f32_16x16x16_bf16 a[148+0:151+0], v[vgprValuB_X3_I0+18+0+0:vgprValuB_X3_I0+18+0+0+1], v[vgprValuA_X3_I0+2+0+0:vgprValuA_X3_I0+2+0+0+1], a[148:151]
/*  mfmaIndex:207  */
_ds_load_b64 v[vgprValuB_X0_I0+4:vgprValuB_X0_I0+4+1], v[vgprLocalReadAddrB] offset:4352 // L -> Reg lro=0 swapByteOffset=0 ti=16 vIdx=2 rIdx=0 oIdx=0 buffer=0 iui=0
v_mfma_f32_16x16x16_bf16 a[144+0:147+0], v[vgprValuB_X3_I0+18+0+0:vgprValuB_X3_I0+18+0+0+1], v[vgprValuA_X3_I0+0+0+0:vgprValuA_X3_I0+0+0+0+1], a[144:147]
/*  mfmaIndex:208  */
_ds_load_b64 v[vgprValuB_X0_I0+6:vgprValuB_X0_I0+6+1], v[vgprLocalReadAddrB] offset:6528 // L -> Reg lro=0 swapByteOffset=0 ti=16 vIdx=3 rIdx=0 oIdx=0 buffer=0 iui=0
v_mfma_f32_16x16x16_bf16 a[160+0:163+0], v[vgprValuB_X3_I0+20+0+0:vgprValuB_X3_I0+20+0+0+1], v[vgprValuA_X3_I0+0+0+0:vgprValuA_X3_I0+0+0+0+1], a[160:163]
/*  mfmaIndex:209  */
_ds_load_b64 v[vgprValuB_X0_I0+8:vgprValuB_X0_I0+8+1], v[vgprLocalReadAddrB] offset:8704 // L -> Reg lro=0 swapByteOffset=0 ti=16 vIdx=4 rIdx=0 oIdx=0 buffer=0 iui=0
v_mfma_f32_16x16x16_bf16 a[164+0:167+0], v[vgprValuB_X3_I0+20+0+0:vgprValuB_X3_I0+20+0+0+1], v[vgprValuA_X3_I0+2+0+0:vgprValuA_X3_I0+2+0+0+1], a[164:167]
/*  mfmaIndex:210  */
_ds_load_b64 v[vgprValuB_X0_I0+10:vgprValuB_X0_I0+10+1], v[vgprLocalReadAddrB] offset:10880 // L -> Reg lro=0 swapByteOffset=0 ti=16 vIdx=5 rIdx=0 oIdx=0 buffer=0 iui=0
v_mfma_f32_16x16x16_bf16 a[168+0:171+0], v[vgprValuB_X3_I0+20+0+0:vgprValuB_X3_I0+20+0+0+1], v[vgprValuA_X3_I0+4+0+0:vgprValuA_X3_I0+4+0+0+1], a[168:171]
/*  mfmaIndex:211  */
_ds_load_b64 v[vgprValuB_X0_I0+12:vgprValuB_X0_I0+12+1], v[vgprLocalReadAddrB] offset:13056 // L -> Reg lro=0 swapByteOffset=0 ti=16 vIdx=6 rIdx=0 oIdx=0 buffer=0 iui=0
v_mfma_f32_16x16x16_bf16 a[172+0:175+0], v[vgprValuB_X3_I0+20+0+0:vgprValuB_X3_I0+20+0+0+1], v[vgprValuA_X3_I0+6+0+0:vgprValuA_X3_I0+6+0+0+1], a[172:175]
/*  mfmaIndex:212  */
_ds_load_b64 v[vgprValuB_X0_I0+14:vgprValuB_X0_I0+14+1], v[vgprLocalReadAddrB] offset:15232 // L -> Reg lro=0 swapByteOffset=0 ti=16 vIdx=7 rIdx=0 oIdx=0 buffer=0 iui=0
v_mfma_f32_16x16x16_bf16 a[188+0:191+0], v[vgprValuB_X3_I0+22+0+0:vgprValuB_X3_I0+22+0+0+1], v[vgprValuA_X3_I0+6+0+0:vgprValuA_X3_I0+6+0+0+1], a[188:191]
/*  mfmaIndex:213  */
_ds_load_b64 v[vgprValuB_X0_I0+16:vgprValuB_X0_I0+16+1], v[vgprLocalReadAddrB] offset:17408 // L -> Reg lro=0 swapByteOffset=0 ti=16 vIdx=8 rIdx=0 oIdx=0 buffer=0 iui=0
v_mfma_f32_16x16x16_bf16 a[184+0:187+0], v[vgprValuB_X3_I0+22+0+0:vgprValuB_X3_I0+22+0+0+1], v[vgprValuA_X3_I0+4+0+0:vgprValuA_X3_I0+4+0+0+1], a[184:187]
/*  mfmaIndex:214  */
_ds_load_b64 v[vgprValuB_X0_I0+18:vgprValuB_X0_I0+18+1], v[vgprLocalReadAddrB] offset:19584 // L -> Reg lro=0 swapByteOffset=0 ti=16 vIdx=9 rIdx=0 oIdx=0 buffer=0 iui=0
v_mfma_f32_16x16x16_bf16 a[180+0:183+0], v[vgprValuB_X3_I0+22+0+0:vgprValuB_X3_I0+22+0+0+1], v[vgprValuA_X3_I0+2+0+0:vgprValuA_X3_I0+2+0+0+1], a[180:183]
/*  mfmaIndex:215  */
_ds_load_b64 v[vgprValuB_X0_I0+20:vgprValuB_X0_I0+20+1], v[vgprLocalReadAddrB] offset:21760 // L -> Reg lro=0 swapByteOffset=0 ti=16 vIdx=10 rIdx=0 oIdx=0 buffer=0 iui=0
v_mfma_f32_16x16x16_bf16 a[176+0:179+0], v[vgprValuB_X3_I0+22+0+0:vgprValuB_X3_I0+22+0+0+1], v[vgprValuA_X3_I0+0+0+0:vgprValuA_X3_I0+0+0+0+1], a[176:179]
/*  mfmaIndex:216  */
_ds_load_b64 v[vgprValuB_X0_I0+22:vgprValuB_X0_I0+22+1], v[vgprLocalReadAddrB] offset:23936 // L -> Reg lro=0 swapByteOffset=0 ti=16 vIdx=11 rIdx=0 oIdx=0 buffer=0 iui=0
v_mfma_f32_16x16x16_bf16 a[192+0:195+0], v[vgprValuB_X3_I0+24+0+0:vgprValuB_X3_I0+24+0+0+1], v[vgprValuA_X3_I0+0+0+0:vgprValuA_X3_I0+0+0+0+1], a[192:195]
/*  mfmaIndex:217  */
_ds_load_b64 v[vgprValuB_X0_I0+24:vgprValuB_X0_I0+24+1], v[vgprLocalReadAddrB] offset:26112 // L -> Reg lro=0 swapByteOffset=0 ti=16 vIdx=12 rIdx=0 oIdx=0 buffer=0 iui=0
v_mfma_f32_16x16x16_bf16 a[196+0:199+0], v[vgprValuB_X3_I0+24+0+0:vgprValuB_X3_I0+24+0+0+1], v[vgprValuA_X3_I0+2+0+0:vgprValuA_X3_I0+2+0+0+1], a[196:199]
/*  mfmaIndex:218  */
_ds_load_b64 v[vgprValuB_X0_I0+26:vgprValuB_X0_I0+26+1], v[vgprLocalReadAddrB] offset:28288 // L -> Reg lro=0 swapByteOffset=0 ti=16 vIdx=13 rIdx=0 oIdx=0 buffer=0 iui=0
v_mfma_f32_16x16x16_bf16 a[200+0:203+0], v[vgprValuB_X3_I0+24+0+0:vgprValuB_X3_I0+24+0+0+1], v[vgprValuA_X3_I0+4+0+0:vgprValuA_X3_I0+4+0+0+1], a[200:203]
/*  mfmaIndex:219  */
v_mfma_f32_16x16x16_bf16 a[204+0:207+0], v[vgprValuB_X3_I0+24+0+0:vgprValuB_X3_I0+24+0+0+1], v[vgprValuA_X3_I0+6+0+0:vgprValuA_X3_I0+6+0+0+1], a[204:207]
/*  mfmaIndex:220  */
	;; [unrolled: 2-line block ×5, first 2 shown]
v_mfma_f32_16x16x16_bf16 a[208+0:211+0], v[vgprValuB_X3_I0+26+0+0:vgprValuB_X3_I0+26+0+0+1], v[vgprValuA_X3_I0+0+0+0:vgprValuA_X3_I0+0+0+0+1], a[208:211]
s_setprio 0                                        // store optimization


/******************************************/
/* Unrolled Loop - End 1/2                */
/******************************************/


/* closeLoop loopL finalLoop=0 tailLoop=0 */
s_sub_u32 s[sgprLoopCounterL], s[sgprLoopCounterL], 1 // dec counterL
s_cmp_eq_i32 s[sgprLoopCounterL], 0x2              // counterL==2
s_cbranch_scc1 LoopEndL_oddexit_3                  // exit LoopL


/******************************************/
/* Unrolled Loop 2/2 - Begin              */
/******************************************/

label_0016: // LoopCopy2 


/* Begin Each Unroll: Check VGPR.checkin for INT8 LW */


	;; [unrolled: 1-line block ×3, first 2 shown]
/* iter 0 */

/*  grEndMfmaIndex:18, lwStartMfmaIndex:98, lwEndMfmaIndex:183  */
/*  numMfmaForLR:35, barrierMfmaIndex:188, LocalWritePerMfma:0.250 */
/*  mfmaIndex:0  */
s_waitcnt lgkmcnt(0)                               // lgkmcnt=0 vmcnt=-1wait for prior local read local write old=0, new=0 newLW=0 newLR=0
/* pack scheduling: packAIdx:2, packBIdx:0 */
v_or_b32 v[vgprValuA_X0_I0+0], v[vgprValuA_X0_I0+0], v[vgprValuA_X0_I0_D1+0] // pack two half Vgpr to one Vgpr
v_or_b32 v[vgprValuA_X0_I0+1], v[vgprValuA_X0_I0+1], v[vgprValuA_X0_I0_D1+1] // pack two half Vgpr to one Vgpr
	;; [unrolled: 1-line block ×4, first 2 shown]
v_mfma_f32_16x16x16_bf16 a[0+0:3+0], v[vgprValuB_X0_I0+0+0+0:vgprValuB_X0_I0+0+0+0+1], v[vgprValuA_X0_I0+0+0+0:vgprValuA_X0_I0+0+0+0+1], a[0:3]
/*  mfmaIndex:1  */
_ds_load_u16 v[vgprValuA_X1_I0+0], v[vgprLocalReadAddrA] offset:8192 // L -> Reg lro=4096 swapByteOffset=0 ti=256 vIdx=0 rIdx=0 oIdx=0 buffer=1 iui=0

/* global read inc A loopL */
s_cmp_eq_u32 s[sgprLoopCounterL], s[sgprStaggerUIter] // Is this the wrapIter?
/* pack scheduling: packAIdx:4, packBIdx:0 */
v_or_b32 v[vgprValuA_X0_I0+4], v[vgprValuA_X0_I0+4], v[vgprValuA_X0_I0_D1+4] // pack two half Vgpr to one Vgpr
v_or_b32 v[vgprValuA_X0_I0+5], v[vgprValuA_X0_I0+5], v[vgprValuA_X0_I0_D1+5] // pack two half Vgpr to one Vgpr
v_mfma_f32_16x16x16_bf16 a[4+0:7+0], v[vgprValuB_X0_I0+0+0+0:vgprValuB_X0_I0+0+0+0+1], v[vgprValuA_X0_I0+2+0+0:vgprValuA_X0_I0+2+0+0+1], a[4:7]
/*  mfmaIndex:2  */
_ds_load_u16_d16_hi v[vgprValuA_X1_I0_D1+0], v[vgprLocalReadAddrA] offset:8704 // L -> Reg lro=4096 swapByteOffset=0 ti=256 vIdx=0 rIdx=1 oIdx=0 buffer=1 iui=0
s_cselect_b32 s76, s[sgprWrapUA+0], s[sgprGlobalReadIncsA+0] // incLower <- ?
/* pack scheduling: packAIdx:6, packBIdx:0 */
v_or_b32 v[vgprValuA_X0_I0+6], v[vgprValuA_X0_I0+6], v[vgprValuA_X0_I0_D1+6] // pack two half Vgpr to one Vgpr
v_or_b32 v[vgprValuA_X0_I0+7], v[vgprValuA_X0_I0+7], v[vgprValuA_X0_I0_D1+7] // pack two half Vgpr to one Vgpr
v_mfma_f32_16x16x16_bf16 a[8+0:11+0], v[vgprValuB_X0_I0+0+0+0:vgprValuB_X0_I0+0+0+0+1], v[vgprValuA_X0_I0+4+0+0:vgprValuA_X0_I0+4+0+0+1], a[8:11]
/*  mfmaIndex:3  */
_ds_load_u16 v[vgprValuA_X1_I0+1], v[vgprLocalReadAddrA] offset:9216 // L -> Reg lro=4096 swapByteOffset=0 ti=256 vIdx=0 rIdx=2 oIdx=0 buffer=1 iui=0
s_cselect_b32 s77, s[sgprWrapUA+1], 0              // incUpper <- ?
v_mfma_f32_16x16x16_bf16 a[12+0:15+0], v[vgprValuB_X0_I0+0+0+0:vgprValuB_X0_I0+0+0+0+1], v[vgprValuA_X0_I0+6+0+0:vgprValuA_X0_I0+6+0+0+1], a[12:15]
/*  mfmaIndex:4  */
_ds_load_u16_d16_hi v[vgprValuA_X1_I0_D1+1], v[vgprLocalReadAddrA] offset:9728 // L -> Reg lro=4096 swapByteOffset=0 ti=256 vIdx=0 rIdx=3 oIdx=0 buffer=1 iui=0
s_add_u32 s[sgprSrdA+0], s[sgprSrdA+0], s76        // gra SRD += inc(lower)
v_mfma_f32_16x16x16_bf16 a[28+0:31+0], v[vgprValuB_X0_I0+2+0+0:vgprValuB_X0_I0+2+0+0+1], v[vgprValuA_X0_I0+6+0+0:vgprValuA_X0_I0+6+0+0+1], a[28:31]
/*  mfmaIndex:5  */
_ds_load_b64 v[vgprValuB_X1_I0+0:vgprValuB_X1_I0+0+1], v[vgprLocalReadAddrB] offset:32 // L -> Reg lro=16 swapByteOffset=0 ti=16 vIdx=0 rIdx=0 oIdx=0 buffer=1 iui=0
s_addc_u32  s[sgprSrdA+1], s[sgprSrdA+1], s77      // gra SRD += inc(upper)
v_mfma_f32_16x16x16_bf16 a[24+0:27+0], v[vgprValuB_X0_I0+2+0+0:vgprValuB_X0_I0+2+0+0+1], v[vgprValuA_X0_I0+4+0+0:vgprValuA_X0_I0+4+0+0+1], a[24:27]
/*  mfmaIndex:6  */
_ds_load_u16 v[vgprValuA_X1_I0+2], v[vgprLocalReadAddrA] offset:8194 // L -> Reg lro=4096 swapByteOffset=0 ti=256 vIdx=0 rIdx=0 oIdx=0 buffer=1 iui=0
s_sub_u32 s[sgprShadowLimitA+0], s[sgprShadowLimitA+0], s76 // limit -= inc)
v_mfma_f32_16x16x16_bf16 a[20+0:23+0], v[vgprValuB_X0_I0+2+0+0:vgprValuB_X0_I0+2+0+0+1], v[vgprValuA_X0_I0+2+0+0:vgprValuA_X0_I0+2+0+0+1], a[20:23]
/*  mfmaIndex:7  */
_ds_load_u16_d16_hi v[vgprValuA_X1_I0_D1+2], v[vgprLocalReadAddrA] offset:8706 // L -> Reg lro=4096 swapByteOffset=0 ti=256 vIdx=0 rIdx=1 oIdx=0 buffer=1 iui=0
s_subb_u32 s[sgprShadowLimitA+1], s[sgprShadowLimitA+1], s77 // limit -= inc)
v_mfma_f32_16x16x16_bf16 a[16+0:19+0], v[vgprValuB_X0_I0+2+0+0:vgprValuB_X0_I0+2+0+0+1], v[vgprValuA_X0_I0+0+0+0:vgprValuA_X0_I0+0+0+0+1], a[16:19]
/*  mfmaIndex:8  */
_ds_load_u16 v[vgprValuA_X1_I0+3], v[vgprLocalReadAddrA] offset:9218 // L -> Reg lro=4096 swapByteOffset=0 ti=256 vIdx=0 rIdx=2 oIdx=0 buffer=1 iui=0
s_cmp_eq_u32 s[sgprShadowLimitA+1], 0              // are we within 2^32?
v_mfma_f32_16x16x16_bf16 a[32+0:35+0], v[vgprValuB_X0_I0+4+0+0:vgprValuB_X0_I0+4+0+0+1], v[vgprValuA_X0_I0+0+0+0:vgprValuA_X0_I0+0+0+0+1], a[32:35]
/*  mfmaIndex:9  */
_ds_load_u16_d16_hi v[vgprValuA_X1_I0_D1+3], v[vgprLocalReadAddrA] offset:9730 // L -> Reg lro=4096 swapByteOffset=0 ti=256 vIdx=0 rIdx=3 oIdx=0 buffer=1 iui=0
s_cselect_b32 s[sgprSrdA+2], s[sgprShadowLimitA+0], BufferLimitA // Move shadow to real if we are within 2^32
v_mfma_f32_16x16x16_bf16 a[36+0:39+0], v[vgprValuB_X0_I0+4+0+0:vgprValuB_X0_I0+4+0+0+1], v[vgprValuA_X0_I0+2+0+0:vgprValuA_X0_I0+2+0+0+1], a[36:39]
/*  mfmaIndex:10  */
_ds_load_u16 v[vgprValuA_X1_I0+4], v[vgprLocalReadAddrA] offset:8196 // L -> Reg lro=4096 swapByteOffset=0 ti=256 vIdx=0 rIdx=0 oIdx=0 buffer=1 iui=0

/* global read inc B loopL */
s_cmp_eq_u32 s[sgprLoopCounterL], s[sgprStaggerUIter] // Is this the wrapIter?
v_mfma_f32_16x16x16_bf16 a[40+0:43+0], v[vgprValuB_X0_I0+4+0+0:vgprValuB_X0_I0+4+0+0+1], v[vgprValuA_X0_I0+4+0+0:vgprValuA_X0_I0+4+0+0+1], a[40:43]
/*  mfmaIndex:11  */
_ds_load_u16_d16_hi v[vgprValuA_X1_I0_D1+4], v[vgprLocalReadAddrA] offset:8708 // L -> Reg lro=4096 swapByteOffset=0 ti=256 vIdx=0 rIdx=1 oIdx=0 buffer=1 iui=0
s_cselect_b32 s76, s[sgprWrapUB+0], s[sgprGlobalReadIncsB+0] // incLower <- ?
v_mfma_f32_16x16x16_bf16 a[44+0:47+0], v[vgprValuB_X0_I0+4+0+0:vgprValuB_X0_I0+4+0+0+1], v[vgprValuA_X0_I0+6+0+0:vgprValuA_X0_I0+6+0+0+1], a[44:47]
/*  mfmaIndex:12  */
_ds_load_u16 v[vgprValuA_X1_I0+5], v[vgprLocalReadAddrA] offset:9220 // L -> Reg lro=4096 swapByteOffset=0 ti=256 vIdx=0 rIdx=2 oIdx=0 buffer=1 iui=0
s_cselect_b32 s77, s[sgprWrapUB+1], 0              // incUpper <- ?
v_mfma_f32_16x16x16_bf16 a[60+0:63+0], v[vgprValuB_X0_I0+6+0+0:vgprValuB_X0_I0+6+0+0+1], v[vgprValuA_X0_I0+6+0+0:vgprValuA_X0_I0+6+0+0+1], a[60:63]
/*  mfmaIndex:13  */
_ds_load_u16_d16_hi v[vgprValuA_X1_I0_D1+5], v[vgprLocalReadAddrA] offset:9732 // L -> Reg lro=4096 swapByteOffset=0 ti=256 vIdx=0 rIdx=3 oIdx=0 buffer=1 iui=0
s_add_u32 s[sgprSrdB+0], s[sgprSrdB+0], s76        // gra SRD += inc(lower)
v_mfma_f32_16x16x16_bf16 a[56+0:59+0], v[vgprValuB_X0_I0+6+0+0:vgprValuB_X0_I0+6+0+0+1], v[vgprValuA_X0_I0+4+0+0:vgprValuA_X0_I0+4+0+0+1], a[56:59]
/*  mfmaIndex:14  */
_ds_load_u16 v[vgprValuA_X1_I0+6], v[vgprLocalReadAddrA] offset:8198 // L -> Reg lro=4096 swapByteOffset=0 ti=256 vIdx=0 rIdx=0 oIdx=0 buffer=1 iui=0
s_addc_u32  s[sgprSrdB+1], s[sgprSrdB+1], s77      // gra SRD += inc(upper)
v_mfma_f32_16x16x16_bf16 a[52+0:55+0], v[vgprValuB_X0_I0+6+0+0:vgprValuB_X0_I0+6+0+0+1], v[vgprValuA_X0_I0+2+0+0:vgprValuA_X0_I0+2+0+0+1], a[52:55]
/*  mfmaIndex:15  */
_ds_load_u16_d16_hi v[vgprValuA_X1_I0_D1+6], v[vgprLocalReadAddrA] offset:8710 // L -> Reg lro=4096 swapByteOffset=0 ti=256 vIdx=0 rIdx=1 oIdx=0 buffer=1 iui=0
s_sub_u32 s[sgprShadowLimitB+0], s[sgprShadowLimitB+0], s76 // limit -= inc)
v_mfma_f32_16x16x16_bf16 a[48+0:51+0], v[vgprValuB_X0_I0+6+0+0:vgprValuB_X0_I0+6+0+0+1], v[vgprValuA_X0_I0+0+0+0:vgprValuA_X0_I0+0+0+0+1], a[48:51]
/*  mfmaIndex:16  */
_ds_load_u16 v[vgprValuA_X1_I0+7], v[vgprLocalReadAddrA] offset:9222 // L -> Reg lro=4096 swapByteOffset=0 ti=256 vIdx=0 rIdx=2 oIdx=0 buffer=1 iui=0
s_subb_u32 s[sgprShadowLimitB+1], s[sgprShadowLimitB+1], s77 // limit -= inc)
v_mfma_f32_16x16x16_bf16 a[64+0:67+0], v[vgprValuB_X0_I0+8+0+0:vgprValuB_X0_I0+8+0+0+1], v[vgprValuA_X0_I0+0+0+0:vgprValuA_X0_I0+0+0+0+1], a[64:67]
/*  mfmaIndex:17  */
_ds_load_u16_d16_hi v[vgprValuA_X1_I0_D1+7], v[vgprLocalReadAddrA] offset:9734 // L -> Reg lro=4096 swapByteOffset=0 ti=256 vIdx=0 rIdx=3 oIdx=0 buffer=1 iui=0
s_cmp_eq_u32 s[sgprShadowLimitB+1], 0              // are we within 2^32?
v_mfma_f32_16x16x16_bf16 a[68+0:71+0], v[vgprValuB_X0_I0+8+0+0:vgprValuB_X0_I0+8+0+0+1], v[vgprValuA_X0_I0+2+0+0:vgprValuA_X0_I0+2+0+0+1], a[68:71]
/*  mfmaIndex:18  */
_ds_load_b64 v[vgprValuB_X1_I0+2:vgprValuB_X1_I0+2+1], v[vgprLocalReadAddrB] offset:2208 // L -> Reg lro=16 swapByteOffset=0 ti=16 vIdx=1 rIdx=0 oIdx=0 buffer=1 iui=0
s_cselect_b32 s[sgprSrdB+2], s[sgprShadowLimitB+0], BufferLimitB // Move shadow to real if we are within 2^32
v_mfma_f32_16x16x16_bf16 a[72+0:75+0], v[vgprValuB_X0_I0+8+0+0:vgprValuB_X0_I0+8+0+0+1], v[vgprValuA_X0_I0+4+0+0:vgprValuA_X0_I0+4+0+0+1], a[72:75]
/*  mfmaIndex:19  */
_ds_load_b64 v[vgprValuB_X1_I0+4:vgprValuB_X1_I0+4+1], v[vgprLocalReadAddrB] offset:4384 // L -> Reg lro=16 swapByteOffset=0 ti=16 vIdx=2 rIdx=0 oIdx=0 buffer=1 iui=0
v_mfma_f32_16x16x16_bf16 a[76+0:79+0], v[vgprValuB_X0_I0+8+0+0:vgprValuB_X0_I0+8+0+0+1], v[vgprValuA_X0_I0+6+0+0:vgprValuA_X0_I0+6+0+0+1], a[76:79]
/*  mfmaIndex:20  */
_ds_load_b64 v[vgprValuB_X1_I0+6:vgprValuB_X1_I0+6+1], v[vgprLocalReadAddrB] offset:6560 // L -> Reg lro=16 swapByteOffset=0 ti=16 vIdx=3 rIdx=0 oIdx=0 buffer=1 iui=0
	;; [unrolled: 3-line block ×12, first 2 shown]
v_mfma_f32_16x16x16_bf16 a[116+0:119+0], v[vgprValuB_X0_I0+14+0+0:vgprValuB_X0_I0+14+0+0+1], v[vgprValuA_X0_I0+2+0+0:vgprValuA_X0_I0+2+0+0+1], a[116:119]
/*  mfmaIndex:31  */
/* localReadsVacancy: latencyLeft 2 */
_ds_load_u16 v[vgprValuA_X2_I0+0], v[vgprLocalReadAddrA] offset:16384 // L -> Reg lro=8192 swapByteOffset=0 ti=256 vIdx=0 rIdx=0 oIdx=0 buffer=2 iui=0
v_mfma_f32_16x16x16_bf16 a[112+0:115+0], v[vgprValuB_X0_I0+14+0+0:vgprValuB_X0_I0+14+0+0+1], v[vgprValuA_X0_I0+0+0+0:vgprValuA_X0_I0+0+0+0+1], a[112:115]
/*  mfmaIndex:32  */
/* localReadsVacancy: latencyLeft 2 */
_ds_load_u16_d16_hi v[vgprValuA_X2_I0_D1+0], v[vgprLocalReadAddrA] offset:16896 // L -> Reg lro=8192 swapByteOffset=0 ti=256 vIdx=0 rIdx=1 oIdx=0 buffer=2 iui=0
v_mfma_f32_16x16x16_bf16 a[128+0:131+0], v[vgprValuB_X0_I0+16+0+0:vgprValuB_X0_I0+16+0+0+1], v[vgprValuA_X0_I0+0+0+0:vgprValuA_X0_I0+0+0+0+1], a[128:131]
/*  mfmaIndex:33  */
/* localReadsVacancy: latencyLeft 2 */
_ds_load_u16 v[vgprValuA_X2_I0+1], v[vgprLocalReadAddrA] offset:17408 // L -> Reg lro=8192 swapByteOffset=0 ti=256 vIdx=0 rIdx=2 oIdx=0 buffer=2 iui=0
v_mfma_f32_16x16x16_bf16 a[132+0:135+0], v[vgprValuB_X0_I0+16+0+0:vgprValuB_X0_I0+16+0+0+1], v[vgprValuA_X0_I0+2+0+0:vgprValuA_X0_I0+2+0+0+1], a[132:135]
/*  mfmaIndex:34  */
/* localReadsVacancy: latencyLeft 2 */
_ds_load_u16_d16_hi v[vgprValuA_X2_I0_D1+1], v[vgprLocalReadAddrA] offset:17920 // L -> Reg lro=8192 swapByteOffset=0 ti=256 vIdx=0 rIdx=3 oIdx=0 buffer=2 iui=0
v_mfma_f32_16x16x16_bf16 a[136+0:139+0], v[vgprValuB_X0_I0+16+0+0:vgprValuB_X0_I0+16+0+0+1], v[vgprValuA_X0_I0+4+0+0:vgprValuA_X0_I0+4+0+0+1], a[136:139]
/*  mfmaIndex:35  */
/* localReadsVacancy: latencyLeft 2 */
_ds_load_b64 v[vgprValuB_X2_I0+0:vgprValuB_X2_I0+0+1], v[vgprLocalReadAddrB] offset:64 // L -> Reg lro=32 swapByteOffset=0 ti=16 vIdx=0 rIdx=0 oIdx=0 buffer=2 iui=0
v_mfma_f32_16x16x16_bf16 a[140+0:143+0], v[vgprValuB_X0_I0+16+0+0:vgprValuB_X0_I0+16+0+0+1], v[vgprValuA_X0_I0+6+0+0:vgprValuA_X0_I0+6+0+0+1], a[140:143]
/*  mfmaIndex:36  */
/* localReadsVacancy: latencyLeft 2 */
_ds_load_u16 v[vgprValuA_X2_I0+2], v[vgprLocalReadAddrA] offset:16386 // L -> Reg lro=8192 swapByteOffset=0 ti=256 vIdx=0 rIdx=0 oIdx=0 buffer=2 iui=0
v_mfma_f32_16x16x16_bf16 a[156+0:159+0], v[vgprValuB_X0_I0+18+0+0:vgprValuB_X0_I0+18+0+0+1], v[vgprValuA_X0_I0+6+0+0:vgprValuA_X0_I0+6+0+0+1], a[156:159]
/*  mfmaIndex:37  */
/* localReadsVacancy: latencyLeft 2 */
_ds_load_u16_d16_hi v[vgprValuA_X2_I0_D1+2], v[vgprLocalReadAddrA] offset:16898 // L -> Reg lro=8192 swapByteOffset=0 ti=256 vIdx=0 rIdx=1 oIdx=0 buffer=2 iui=0
v_mfma_f32_16x16x16_bf16 a[152+0:155+0], v[vgprValuB_X0_I0+18+0+0:vgprValuB_X0_I0+18+0+0+1], v[vgprValuA_X0_I0+4+0+0:vgprValuA_X0_I0+4+0+0+1], a[152:155]
/*  mfmaIndex:38  */
/* localReadsVacancy: latencyLeft 2 */
_ds_load_u16 v[vgprValuA_X2_I0+3], v[vgprLocalReadAddrA] offset:17410 // L -> Reg lro=8192 swapByteOffset=0 ti=256 vIdx=0 rIdx=2 oIdx=0 buffer=2 iui=0
v_mfma_f32_16x16x16_bf16 a[148+0:151+0], v[vgprValuB_X0_I0+18+0+0:vgprValuB_X0_I0+18+0+0+1], v[vgprValuA_X0_I0+2+0+0:vgprValuA_X0_I0+2+0+0+1], a[148:151]
/*  mfmaIndex:39  */
/* localReadsVacancy: latencyLeft 2 */
_ds_load_u16_d16_hi v[vgprValuA_X2_I0_D1+3], v[vgprLocalReadAddrA] offset:17922 // L -> Reg lro=8192 swapByteOffset=0 ti=256 vIdx=0 rIdx=3 oIdx=0 buffer=2 iui=0
	;; [unrolled: 8-line block ×6, first 2 shown]
v_mfma_f32_16x16x16_bf16 a[176+0:179+0], v[vgprValuB_X0_I0+22+0+0:vgprValuB_X0_I0+22+0+0+1], v[vgprValuA_X0_I0+0+0+0:vgprValuA_X0_I0+0+0+0+1], a[176:179]
/*  mfmaIndex:48  */
/* localReadsVacancy: latencyLeft 2 */
_ds_load_b64 v[vgprValuB_X2_I0+2:vgprValuB_X2_I0+2+1], v[vgprLocalReadAddrB] offset:2240 // L -> Reg lro=32 swapByteOffset=0 ti=16 vIdx=1 rIdx=0 oIdx=0 buffer=2 iui=0
v_mfma_f32_16x16x16_bf16 a[192+0:195+0], v[vgprValuB_X0_I0+24+0+0:vgprValuB_X0_I0+24+0+0+1], v[vgprValuA_X0_I0+0+0+0:vgprValuA_X0_I0+0+0+0+1], a[192:195]
/*  mfmaIndex:49  */
/* localReadsVacancy: latencyLeft 2 */
_ds_load_b64 v[vgprValuB_X2_I0+4:vgprValuB_X2_I0+4+1], v[vgprLocalReadAddrB] offset:4416 // L -> Reg lro=32 swapByteOffset=0 ti=16 vIdx=2 rIdx=0 oIdx=0 buffer=2 iui=0
	;; [unrolled: 4-line block ×8, first 2 shown]
v_mfma_f32_16x16x16_bf16 a[208+0:211+0], v[vgprValuB_X0_I0+26+0+0:vgprValuB_X0_I0+26+0+0+1], v[vgprValuA_X0_I0+0+0+0:vgprValuA_X0_I0+0+0+0+1], a[208:211]
/* numPrefetchIter=0 */
/* dataAtIterA=-1 numReadsIterA=1 skipReadsIterA=1 readsPerIterA=16 */
/* dataAtIterB=-1 numReadsIterB=1 skipReadsIterB=1 readsPerIterB=14 */


/* iter 1 */

/*  grEndMfmaIndex:18, lwStartMfmaIndex:98, lwEndMfmaIndex:183  */
/*  numMfmaForLR:35, barrierMfmaIndex:188, LocalWritePerMfma:0.250 */
/*  mfmaIndex:56  */
_ds_load_b64 v[vgprValuB_X2_I0+18:vgprValuB_X2_I0+18+1], v[vgprLocalReadAddrB] offset:19648 // L -> Reg lro=32 swapByteOffset=0 ti=16 vIdx=9 rIdx=0 oIdx=0 buffer=2 iui=0
s_waitcnt lgkmcnt(15)                              // lgkmcnt=0 vmcnt=-1wait for prior local read local write old=25, new=26 newLW=0 newLR=1
/* pack scheduling: packAIdx:2, packBIdx:0 */
v_or_b32 v[vgprValuA_X1_I0+0], v[vgprValuA_X1_I0+0], v[vgprValuA_X1_I0_D1+0] // pack two half Vgpr to one Vgpr
v_or_b32 v[vgprValuA_X1_I0+1], v[vgprValuA_X1_I0+1], v[vgprValuA_X1_I0_D1+1] // pack two half Vgpr to one Vgpr
	;; [unrolled: 1-line block ×4, first 2 shown]
v_mfma_f32_16x16x16_bf16 a[0+0:3+0], v[vgprValuB_X1_I0+0+0+0:vgprValuB_X1_I0+0+0+0+1], v[vgprValuA_X1_I0+0+0+0:vgprValuA_X1_I0+0+0+0+1], a[0:3]
/*  mfmaIndex:57  */
_ds_load_b64 v[vgprValuB_X2_I0+20:vgprValuB_X2_I0+20+1], v[vgprLocalReadAddrB] offset:21824 // L -> Reg lro=32 swapByteOffset=0 ti=16 vIdx=10 rIdx=0 oIdx=0 buffer=2 iui=0
/* pack scheduling: packAIdx:4, packBIdx:0 */
v_or_b32 v[vgprValuA_X1_I0+4], v[vgprValuA_X1_I0+4], v[vgprValuA_X1_I0_D1+4] // pack two half Vgpr to one Vgpr
v_or_b32 v[vgprValuA_X1_I0+5], v[vgprValuA_X1_I0+5], v[vgprValuA_X1_I0_D1+5] // pack two half Vgpr to one Vgpr
v_mfma_f32_16x16x16_bf16 a[4+0:7+0], v[vgprValuB_X1_I0+0+0+0:vgprValuB_X1_I0+0+0+0+1], v[vgprValuA_X1_I0+2+0+0:vgprValuA_X1_I0+2+0+0+1], a[4:7]
/*  mfmaIndex:58  */
_ds_load_b64 v[vgprValuB_X2_I0+22:vgprValuB_X2_I0+22+1], v[vgprLocalReadAddrB] offset:24000 // L -> Reg lro=32 swapByteOffset=0 ti=16 vIdx=11 rIdx=0 oIdx=0 buffer=2 iui=0
/* pack scheduling: packAIdx:6, packBIdx:0 */
v_or_b32 v[vgprValuA_X1_I0+6], v[vgprValuA_X1_I0+6], v[vgprValuA_X1_I0_D1+6] // pack two half Vgpr to one Vgpr
v_or_b32 v[vgprValuA_X1_I0+7], v[vgprValuA_X1_I0+7], v[vgprValuA_X1_I0_D1+7] // pack two half Vgpr to one Vgpr
v_mfma_f32_16x16x16_bf16 a[8+0:11+0], v[vgprValuB_X1_I0+0+0+0:vgprValuB_X1_I0+0+0+0+1], v[vgprValuA_X1_I0+4+0+0:vgprValuA_X1_I0+4+0+0+1], a[8:11]
/*  mfmaIndex:59  */
_ds_load_b64 v[vgprValuB_X2_I0+24:vgprValuB_X2_I0+24+1], v[vgprLocalReadAddrB] offset:26176 // L -> Reg lro=32 swapByteOffset=0 ti=16 vIdx=12 rIdx=0 oIdx=0 buffer=2 iui=0
v_mfma_f32_16x16x16_bf16 a[12+0:15+0], v[vgprValuB_X1_I0+0+0+0:vgprValuB_X1_I0+0+0+0+1], v[vgprValuA_X1_I0+6+0+0:vgprValuA_X1_I0+6+0+0+1], a[12:15]
/*  mfmaIndex:60  */
_ds_load_b64 v[vgprValuB_X2_I0+26:vgprValuB_X2_I0+26+1], v[vgprLocalReadAddrB] offset:28352 // L -> Reg lro=32 swapByteOffset=0 ti=16 vIdx=13 rIdx=0 oIdx=0 buffer=2 iui=0
v_mfma_f32_16x16x16_bf16 a[28+0:31+0], v[vgprValuB_X1_I0+2+0+0:vgprValuB_X1_I0+2+0+0+1], v[vgprValuA_X1_I0+6+0+0:vgprValuA_X1_I0+6+0+0+1], a[28:31]
/*  mfmaIndex:61  */
/* localReadsVacancy: latencyLeft 2 */
_ds_load_u16 v[vgprValuA_X3_I0+0], v[vgprLocalReadAddrA] offset:24576 // L -> Reg lro=12288 swapByteOffset=0 ti=256 vIdx=0 rIdx=0 oIdx=0 buffer=3 iui=0
v_mfma_f32_16x16x16_bf16 a[24+0:27+0], v[vgprValuB_X1_I0+2+0+0:vgprValuB_X1_I0+2+0+0+1], v[vgprValuA_X1_I0+4+0+0:vgprValuA_X1_I0+4+0+0+1], a[24:27]
/*  mfmaIndex:62  */
/* localReadsVacancy: latencyLeft 2 */
_ds_load_u16_d16_hi v[vgprValuA_X3_I0_D1+0], v[vgprLocalReadAddrA] offset:25088 // L -> Reg lro=12288 swapByteOffset=0 ti=256 vIdx=0 rIdx=1 oIdx=0 buffer=3 iui=0
v_mfma_f32_16x16x16_bf16 a[20+0:23+0], v[vgprValuB_X1_I0+2+0+0:vgprValuB_X1_I0+2+0+0+1], v[vgprValuA_X1_I0+2+0+0:vgprValuA_X1_I0+2+0+0+1], a[20:23]
/*  mfmaIndex:63  */
/* localReadsVacancy: latencyLeft 2 */
_ds_load_u16 v[vgprValuA_X3_I0+1], v[vgprLocalReadAddrA] offset:25600 // L -> Reg lro=12288 swapByteOffset=0 ti=256 vIdx=0 rIdx=2 oIdx=0 buffer=3 iui=0
v_mfma_f32_16x16x16_bf16 a[16+0:19+0], v[vgprValuB_X1_I0+2+0+0:vgprValuB_X1_I0+2+0+0+1], v[vgprValuA_X1_I0+0+0+0:vgprValuA_X1_I0+0+0+0+1], a[16:19]
/*  mfmaIndex:64  */
/* localReadsVacancy: latencyLeft 2 */
_ds_load_u16_d16_hi v[vgprValuA_X3_I0_D1+1], v[vgprLocalReadAddrA] offset:26112 // L -> Reg lro=12288 swapByteOffset=0 ti=256 vIdx=0 rIdx=3 oIdx=0 buffer=3 iui=0
v_mfma_f32_16x16x16_bf16 a[32+0:35+0], v[vgprValuB_X1_I0+4+0+0:vgprValuB_X1_I0+4+0+0+1], v[vgprValuA_X1_I0+0+0+0:vgprValuA_X1_I0+0+0+0+1], a[32:35]
/*  mfmaIndex:65  */
/* localReadsVacancy: latencyLeft 2 */
_ds_load_b64 v[vgprValuB_X3_I0+0:vgprValuB_X3_I0+0+1], v[vgprLocalReadAddrB] offset:96 // L -> Reg lro=48 swapByteOffset=0 ti=16 vIdx=0 rIdx=0 oIdx=0 buffer=3 iui=0
v_mfma_f32_16x16x16_bf16 a[36+0:39+0], v[vgprValuB_X1_I0+4+0+0:vgprValuB_X1_I0+4+0+0+1], v[vgprValuA_X1_I0+2+0+0:vgprValuA_X1_I0+2+0+0+1], a[36:39]
/*  mfmaIndex:66  */
/* localReadsVacancy: latencyLeft 2 */
_ds_load_u16 v[vgprValuA_X3_I0+2], v[vgprLocalReadAddrA] offset:24578 // L -> Reg lro=12288 swapByteOffset=0 ti=256 vIdx=0 rIdx=0 oIdx=0 buffer=3 iui=0
v_mfma_f32_16x16x16_bf16 a[40+0:43+0], v[vgprValuB_X1_I0+4+0+0:vgprValuB_X1_I0+4+0+0+1], v[vgprValuA_X1_I0+4+0+0:vgprValuA_X1_I0+4+0+0+1], a[40:43]
/*  mfmaIndex:67  */
/* localReadsVacancy: latencyLeft 2 */
_ds_load_u16_d16_hi v[vgprValuA_X3_I0_D1+2], v[vgprLocalReadAddrA] offset:25090 // L -> Reg lro=12288 swapByteOffset=0 ti=256 vIdx=0 rIdx=1 oIdx=0 buffer=3 iui=0
v_mfma_f32_16x16x16_bf16 a[44+0:47+0], v[vgprValuB_X1_I0+4+0+0:vgprValuB_X1_I0+4+0+0+1], v[vgprValuA_X1_I0+6+0+0:vgprValuA_X1_I0+6+0+0+1], a[44:47]
/*  mfmaIndex:68  */
/* localReadsVacancy: latencyLeft 2 */
_ds_load_u16 v[vgprValuA_X3_I0+3], v[vgprLocalReadAddrA] offset:25602 // L -> Reg lro=12288 swapByteOffset=0 ti=256 vIdx=0 rIdx=2 oIdx=0 buffer=3 iui=0
v_mfma_f32_16x16x16_bf16 a[60+0:63+0], v[vgprValuB_X1_I0+6+0+0:vgprValuB_X1_I0+6+0+0+1], v[vgprValuA_X1_I0+6+0+0:vgprValuA_X1_I0+6+0+0+1], a[60:63]
/*  mfmaIndex:69  */
/* localReadsVacancy: latencyLeft 2 */
_ds_load_u16_d16_hi v[vgprValuA_X3_I0_D1+3], v[vgprLocalReadAddrA] offset:26114 // L -> Reg lro=12288 swapByteOffset=0 ti=256 vIdx=0 rIdx=3 oIdx=0 buffer=3 iui=0
	;; [unrolled: 8-line block ×6, first 2 shown]
v_mfma_f32_16x16x16_bf16 a[88+0:91+0], v[vgprValuB_X1_I0+10+0+0:vgprValuB_X1_I0+10+0+0+1], v[vgprValuA_X1_I0+4+0+0:vgprValuA_X1_I0+4+0+0+1], a[88:91]
/*  mfmaIndex:78  */
/* localReadsVacancy: latencyLeft 2 */
_ds_load_b64 v[vgprValuB_X3_I0+2:vgprValuB_X3_I0+2+1], v[vgprLocalReadAddrB] offset:2272 // L -> Reg lro=48 swapByteOffset=0 ti=16 vIdx=1 rIdx=0 oIdx=0 buffer=3 iui=0
v_mfma_f32_16x16x16_bf16 a[84+0:87+0], v[vgprValuB_X1_I0+10+0+0:vgprValuB_X1_I0+10+0+0+1], v[vgprValuA_X1_I0+2+0+0:vgprValuA_X1_I0+2+0+0+1], a[84:87]
/*  mfmaIndex:79  */
/* localReadsVacancy: latencyLeft 2 */
_ds_load_b64 v[vgprValuB_X3_I0+4:vgprValuB_X3_I0+4+1], v[vgprLocalReadAddrB] offset:4448 // L -> Reg lro=48 swapByteOffset=0 ti=16 vIdx=2 rIdx=0 oIdx=0 buffer=3 iui=0
	;; [unrolled: 4-line block ×13, first 2 shown]
v_mfma_f32_16x16x16_bf16 a[136+0:139+0], v[vgprValuB_X1_I0+16+0+0:vgprValuB_X1_I0+16+0+0+1], v[vgprValuA_X1_I0+4+0+0:vgprValuA_X1_I0+4+0+0+1], a[136:139]
/*  mfmaIndex:91  */
/* localReadsVacancy: latencyLeft 2 */
v_mfma_f32_16x16x16_bf16 a[140+0:143+0], v[vgprValuB_X1_I0+16+0+0:vgprValuB_X1_I0+16+0+0+1], v[vgprValuA_X1_I0+6+0+0:vgprValuA_X1_I0+6+0+0+1], a[140:143]
/*  mfmaIndex:92  */
/* localReadsVacancy: latencyLeft 2 */
	;; [unrolled: 3-line block ×7, first 2 shown]
/* 1 LDS buffer: read-sync-write */
s_waitcnt lgkmcnt(0)                               // 
s_barrier                                          // 
v_mfma_f32_16x16x16_bf16 a[164+0:167+0], v[vgprValuB_X1_I0+20+0+0:vgprValuB_X1_I0+20+0+0+1], v[vgprValuA_X1_I0+2+0+0:vgprValuA_X1_I0+2+0+0+1], a[164:167]
/*  mfmaIndex:98  */
s_setprio 3                                        // store optimization
/* sched write - iter 1 writesPerItem=1 */
s_waitcnt vmcnt(0)                                 // lgkmcnt=-1 vmcnt=0wait for global read before writing to local
_ds_store_b128 v[vgprLocalWriteAddrA], v[vgprG2LA+0:vgprG2LA+0+3] offset:0 // lwoA_0_0_0_0 = (0*LSCA) + (0*LSPA)(*MT0I+PAD) = 0
v_mfma_f32_16x16x16_bf16 a[168+0:171+0], v[vgprValuB_X1_I0+20+0+0:vgprValuB_X1_I0+20+0+0+1], v[vgprValuA_X1_I0+4+0+0:vgprValuA_X1_I0+4+0+0+1], a[168:171]
/*  mfmaIndex:99  */
_buffer_load_b128 v[vgprG2LA+0:vgprG2LA+0+3], v[vgprGlobalReadOffsetA+0], s[sgprSrdA:sgprSrdA+3], 0, offen offset:0 // G -> Reg 0_0_0_0
v_mfma_f32_16x16x16_bf16 a[172+0:175+0], v[vgprValuB_X1_I0+20+0+0:vgprValuB_X1_I0+20+0+0+1], v[vgprValuA_X1_I0+6+0+0:vgprValuA_X1_I0+6+0+0+1], a[172:175]
/*  mfmaIndex:100  */
v_mfma_f32_16x16x16_bf16 a[188+0:191+0], v[vgprValuB_X1_I0+22+0+0:vgprValuB_X1_I0+22+0+0+1], v[vgprValuA_X1_I0+6+0+0:vgprValuA_X1_I0+6+0+0+1], a[188:191]
/*  mfmaIndex:101  */
	;; [unrolled: 2-line block ×3, first 2 shown]
/* sched write - iter 1 writesPerItem=1 */
s_waitcnt vmcnt(0)                                 // lgkmcnt=-1 vmcnt=0wait for global read before writing to local
_ds_store_b128 v[vgprLocalWriteAddrA], v[vgprG2LA+4:vgprG2LA+4+3] offset:256 // lwoA_1_0_0_0 = (1*LSCA) + (0*LSPA)(*MT0I+PAD) = 256
v_mfma_f32_16x16x16_bf16 a[180+0:183+0], v[vgprValuB_X1_I0+22+0+0:vgprValuB_X1_I0+22+0+0+1], v[vgprValuA_X1_I0+2+0+0:vgprValuA_X1_I0+2+0+0+1], a[180:183]
/*  mfmaIndex:103  */
_buffer_load_b128 v[vgprG2LA+4:vgprG2LA+4+3], v[vgprGlobalReadOffsetA+0], s[sgprSrdA:sgprSrdA+3], s[sgprScalarGlobalReadOffsetA+0], offen offset:0 // G -> Reg 1_0_0_0
v_mfma_f32_16x16x16_bf16 a[176+0:179+0], v[vgprValuB_X1_I0+22+0+0:vgprValuB_X1_I0+22+0+0+1], v[vgprValuA_X1_I0+0+0+0:vgprValuA_X1_I0+0+0+0+1], a[176:179]
/*  mfmaIndex:104  */
v_mfma_f32_16x16x16_bf16 a[192+0:195+0], v[vgprValuB_X1_I0+24+0+0:vgprValuB_X1_I0+24+0+0+1], v[vgprValuA_X1_I0+0+0+0:vgprValuA_X1_I0+0+0+0+1], a[192:195]
/*  mfmaIndex:105  */
	;; [unrolled: 2-line block ×3, first 2 shown]
/* sched write - iter 1 writesPerItem=1 */
s_waitcnt vmcnt(0)                                 // lgkmcnt=-1 vmcnt=0wait for global read before writing to local
_ds_store_b128 v[vgprLocalWriteAddrA], v[vgprG2LA+8:vgprG2LA+8+3] offset:8192 // lwoA_0_0_1_0 = (0*LSCA) + (1*LSPA)(*MT0I+PAD) = 8192
v_mfma_f32_16x16x16_bf16 a[200+0:203+0], v[vgprValuB_X1_I0+24+0+0:vgprValuB_X1_I0+24+0+0+1], v[vgprValuA_X1_I0+4+0+0:vgprValuA_X1_I0+4+0+0+1], a[200:203]
/*  mfmaIndex:107  */
_buffer_load_b128 v[vgprG2LA+8:vgprG2LA+8+3], v[vgprGlobalReadOffsetA+0], s[sgprSrdA:sgprSrdA+3], s[sgprScalarGlobalReadOffsetA+1], offen offset:0 // G -> Reg 0_0_1_0
v_mfma_f32_16x16x16_bf16 a[204+0:207+0], v[vgprValuB_X1_I0+24+0+0:vgprValuB_X1_I0+24+0+0+1], v[vgprValuA_X1_I0+6+0+0:vgprValuA_X1_I0+6+0+0+1], a[204:207]
/*  mfmaIndex:108  */
v_mfma_f32_16x16x16_bf16 a[220+0:223+0], v[vgprValuB_X1_I0+26+0+0:vgprValuB_X1_I0+26+0+0+1], v[vgprValuA_X1_I0+6+0+0:vgprValuA_X1_I0+6+0+0+1], a[220:223]
/*  mfmaIndex:109  */
	;; [unrolled: 2-line block ×3, first 2 shown]
/* sched write - iter 1 writesPerItem=1 */
s_waitcnt vmcnt(0)                                 // lgkmcnt=-1 vmcnt=0wait for global read before writing to local
_ds_store_b128 v[vgprLocalWriteAddrA], v[vgprG2LA+12:vgprG2LA+12+3] offset:8448 // lwoA_1_0_1_0 = (1*LSCA) + (1*LSPA)(*MT0I+PAD) = 8448
v_mfma_f32_16x16x16_bf16 a[212+0:215+0], v[vgprValuB_X1_I0+26+0+0:vgprValuB_X1_I0+26+0+0+1], v[vgprValuA_X1_I0+2+0+0:vgprValuA_X1_I0+2+0+0+1], a[212:215]
/*  mfmaIndex:111  */
_buffer_load_b128 v[vgprG2LA+12:vgprG2LA+12+3], v[vgprGlobalReadOffsetA+0], s[sgprSrdA:sgprSrdA+3], s[sgprScalarGlobalReadOffsetA+2], offen offset:0 // G -> Reg 1_0_1_0
v_mfma_f32_16x16x16_bf16 a[208+0:211+0], v[vgprValuB_X1_I0+26+0+0:vgprValuB_X1_I0+26+0+0+1], v[vgprValuA_X1_I0+0+0+0:vgprValuA_X1_I0+0+0+0+1], a[208:211]
/* numPrefetchIter=0 */
/* dataAtIterA=0 numReadsIterA=2 skipReadsIterA=1 readsPerIterA=16 */
/* dataAtIterB=0 numReadsIterB=2 skipReadsIterB=1 readsPerIterB=14 */


/* iter 2 (reset local read pointers iteration)  (swap local read pointers iteration)  */

/*  grEndMfmaIndex:18, lwStartMfmaIndex:98, lwEndMfmaIndex:183  */
/*  numMfmaForLR:35, barrierMfmaIndex:188, LocalWritePerMfma:0.250 */
/*  mfmaIndex:112  */
/* pack scheduling: packAIdx:2, packBIdx:0 */
v_or_b32 v[vgprValuA_X2_I0+0], v[vgprValuA_X2_I0+0], v[vgprValuA_X2_I0_D1+0] // pack two half Vgpr to one Vgpr
v_or_b32 v[vgprValuA_X2_I0+1], v[vgprValuA_X2_I0+1], v[vgprValuA_X2_I0_D1+1] // pack two half Vgpr to one Vgpr
	;; [unrolled: 1-line block ×4, first 2 shown]
v_mfma_f32_16x16x16_bf16 a[0+0:3+0], v[vgprValuB_X2_I0+0+0+0:vgprValuB_X2_I0+0+0+0+1], v[vgprValuA_X2_I0+0+0+0:vgprValuA_X2_I0+0+0+0+1], a[0:3]
/*  mfmaIndex:113  */
/* pack scheduling: packAIdx:4, packBIdx:0 */
v_or_b32 v[vgprValuA_X2_I0+4], v[vgprValuA_X2_I0+4], v[vgprValuA_X2_I0_D1+4] // pack two half Vgpr to one Vgpr
v_or_b32 v[vgprValuA_X2_I0+5], v[vgprValuA_X2_I0+5], v[vgprValuA_X2_I0_D1+5] // pack two half Vgpr to one Vgpr
v_mfma_f32_16x16x16_bf16 a[4+0:7+0], v[vgprValuB_X2_I0+0+0+0:vgprValuB_X2_I0+0+0+0+1], v[vgprValuA_X2_I0+2+0+0:vgprValuA_X2_I0+2+0+0+1], a[4:7]
/*  mfmaIndex:114  */
/* sched write - iter 2 writesPerItem=1 */
s_waitcnt vmcnt(0)                                 // lgkmcnt=-1 vmcnt=0wait for global read before writing to local
_ds_store_b128 v[vgprLocalWriteAddrA], v[vgprG2LA+16:vgprG2LA+16+3] offset:16384 // lwoA_0_0_2_0 = (0*LSCA) + (2*LSPA)(*MT0I+PAD) = 16384
/* pack scheduling: packAIdx:6, packBIdx:0 */
v_or_b32 v[vgprValuA_X2_I0+6], v[vgprValuA_X2_I0+6], v[vgprValuA_X2_I0_D1+6] // pack two half Vgpr to one Vgpr
v_or_b32 v[vgprValuA_X2_I0+7], v[vgprValuA_X2_I0+7], v[vgprValuA_X2_I0_D1+7] // pack two half Vgpr to one Vgpr
v_mfma_f32_16x16x16_bf16 a[8+0:11+0], v[vgprValuB_X2_I0+0+0+0:vgprValuB_X2_I0+0+0+0+1], v[vgprValuA_X2_I0+4+0+0:vgprValuA_X2_I0+4+0+0+1], a[8:11]
/*  mfmaIndex:115  */
_buffer_load_b128 v[vgprG2LA+16:vgprG2LA+16+3], v[vgprGlobalReadOffsetA+0], s[sgprSrdA:sgprSrdA+3], s[sgprScalarGlobalReadOffsetA+3], offen offset:0 // G -> Reg 0_0_2_0
v_mfma_f32_16x16x16_bf16 a[12+0:15+0], v[vgprValuB_X2_I0+0+0+0:vgprValuB_X2_I0+0+0+0+1], v[vgprValuA_X2_I0+6+0+0:vgprValuA_X2_I0+6+0+0+1], a[12:15]
/*  mfmaIndex:116  */
v_mfma_f32_16x16x16_bf16 a[28+0:31+0], v[vgprValuB_X2_I0+2+0+0:vgprValuB_X2_I0+2+0+0+1], v[vgprValuA_X2_I0+6+0+0:vgprValuA_X2_I0+6+0+0+1], a[28:31]
/*  mfmaIndex:117  */
	;; [unrolled: 2-line block ×3, first 2 shown]
/* sched write - iter 2 writesPerItem=1 */
s_waitcnt vmcnt(0)                                 // lgkmcnt=-1 vmcnt=0wait for global read before writing to local
_ds_store_b128 v[vgprLocalWriteAddrA], v[vgprG2LA+20:vgprG2LA+20+3] offset:16640 // lwoA_1_0_2_0 = (1*LSCA) + (2*LSPA)(*MT0I+PAD) = 16640
v_mfma_f32_16x16x16_bf16 a[20+0:23+0], v[vgprValuB_X2_I0+2+0+0:vgprValuB_X2_I0+2+0+0+1], v[vgprValuA_X2_I0+2+0+0:vgprValuA_X2_I0+2+0+0+1], a[20:23]
/*  mfmaIndex:119  */
_buffer_load_b128 v[vgprG2LA+20:vgprG2LA+20+3], v[vgprGlobalReadOffsetA+0], s[sgprSrdA:sgprSrdA+3], s[sgprScalarGlobalReadOffsetA+4], offen offset:0 // G -> Reg 1_0_2_0
v_mfma_f32_16x16x16_bf16 a[16+0:19+0], v[vgprValuB_X2_I0+2+0+0:vgprValuB_X2_I0+2+0+0+1], v[vgprValuA_X2_I0+0+0+0:vgprValuA_X2_I0+0+0+0+1], a[16:19]
/*  mfmaIndex:120  */
v_mfma_f32_16x16x16_bf16 a[32+0:35+0], v[vgprValuB_X2_I0+4+0+0:vgprValuB_X2_I0+4+0+0+1], v[vgprValuA_X2_I0+0+0+0:vgprValuA_X2_I0+0+0+0+1], a[32:35]
/*  mfmaIndex:121  */
	;; [unrolled: 2-line block ×3, first 2 shown]
/* sched write - iter 2 writesPerItem=1 */
s_waitcnt vmcnt(0)                                 // lgkmcnt=-1 vmcnt=0wait for global read before writing to local
_ds_store_b128 v[vgprLocalWriteAddrA], v[vgprG2LA+24:vgprG2LA+24+3] offset:24576 // lwoA_0_0_3_0 = (0*LSCA) + (3*LSPA)(*MT0I+PAD) = 24576
v_mfma_f32_16x16x16_bf16 a[40+0:43+0], v[vgprValuB_X2_I0+4+0+0:vgprValuB_X2_I0+4+0+0+1], v[vgprValuA_X2_I0+4+0+0:vgprValuA_X2_I0+4+0+0+1], a[40:43]
/*  mfmaIndex:123  */
_buffer_load_b128 v[vgprG2LA+24:vgprG2LA+24+3], v[vgprGlobalReadOffsetA+0], s[sgprSrdA:sgprSrdA+3], s[sgprScalarGlobalReadOffsetA+5], offen offset:0 // G -> Reg 0_0_3_0
v_mfma_f32_16x16x16_bf16 a[44+0:47+0], v[vgprValuB_X2_I0+4+0+0:vgprValuB_X2_I0+4+0+0+1], v[vgprValuA_X2_I0+6+0+0:vgprValuA_X2_I0+6+0+0+1], a[44:47]
/*  mfmaIndex:124  */
v_mfma_f32_16x16x16_bf16 a[60+0:63+0], v[vgprValuB_X2_I0+6+0+0:vgprValuB_X2_I0+6+0+0+1], v[vgprValuA_X2_I0+6+0+0:vgprValuA_X2_I0+6+0+0+1], a[60:63]
/*  mfmaIndex:125  */
	;; [unrolled: 2-line block ×3, first 2 shown]
/* sched write - iter 2 writesPerItem=1 */
s_waitcnt vmcnt(0)                                 // lgkmcnt=-1 vmcnt=0wait for global read before writing to local
_ds_store_b128 v[vgprLocalWriteAddrA], v[vgprG2LA+28:vgprG2LA+28+3] offset:24832 // lwoA_1_0_3_0 = (1*LSCA) + (3*LSPA)(*MT0I+PAD) = 24832
v_mfma_f32_16x16x16_bf16 a[52+0:55+0], v[vgprValuB_X2_I0+6+0+0:vgprValuB_X2_I0+6+0+0+1], v[vgprValuA_X2_I0+2+0+0:vgprValuA_X2_I0+2+0+0+1], a[52:55]
/*  mfmaIndex:127  */
_buffer_load_b128 v[vgprG2LA+28:vgprG2LA+28+3], v[vgprGlobalReadOffsetA+0], s[sgprSrdA:sgprSrdA+3], s[sgprScalarGlobalReadOffsetA+6], offen offset:0 // G -> Reg 1_0_3_0
v_mfma_f32_16x16x16_bf16 a[48+0:51+0], v[vgprValuB_X2_I0+6+0+0:vgprValuB_X2_I0+6+0+0+1], v[vgprValuA_X2_I0+0+0+0:vgprValuA_X2_I0+0+0+0+1], a[48:51]
/*  mfmaIndex:128  */
v_mfma_f32_16x16x16_bf16 a[64+0:67+0], v[vgprValuB_X2_I0+8+0+0:vgprValuB_X2_I0+8+0+0+1], v[vgprValuA_X2_I0+0+0+0:vgprValuA_X2_I0+0+0+0+1], a[64:67]
/*  mfmaIndex:129  */
	;; [unrolled: 2-line block ×3, first 2 shown]
/* sched write - iter 2 writesPerItem=1 */
s_waitcnt vmcnt(0)                                 // lgkmcnt=-1 vmcnt=0wait for global read before writing to local
_ds_store_b64 v[vgprLocalWriteAddrB], v[vgprG2LB+0:vgprG2LB+0+1] offset:0 // lwoB_0_0_0_0 = (0*LSCB)*(MT1J+PAD) + (0*LSPB) = 0
v_mfma_f32_16x16x16_bf16 a[72+0:75+0], v[vgprValuB_X2_I0+8+0+0:vgprValuB_X2_I0+8+0+0+1], v[vgprValuA_X2_I0+4+0+0:vgprValuA_X2_I0+4+0+0+1], a[72:75]
/*  mfmaIndex:131  */
_buffer_load_b64 v[vgprG2LB+0:vgprG2LB+0+1], v[vgprGlobalReadOffsetB+0], s[sgprSrdB:sgprSrdB+3], 0, offen offset:0 // G -> Reg 0_0_0_0
v_mfma_f32_16x16x16_bf16 a[76+0:79+0], v[vgprValuB_X2_I0+8+0+0:vgprValuB_X2_I0+8+0+0+1], v[vgprValuA_X2_I0+6+0+0:vgprValuA_X2_I0+6+0+0+1], a[76:79]
/*  mfmaIndex:132  */
v_mfma_f32_16x16x16_bf16 a[92+0:95+0], v[vgprValuB_X2_I0+10+0+0:vgprValuB_X2_I0+10+0+0+1], v[vgprValuA_X2_I0+6+0+0:vgprValuA_X2_I0+6+0+0+1], a[92:95]
/*  mfmaIndex:133  */
	;; [unrolled: 2-line block ×3, first 2 shown]
/* sched write - iter 2 writesPerItem=1 */
s_waitcnt vmcnt(0)                                 // lgkmcnt=-1 vmcnt=0wait for global read before writing to local
_ds_store_b64 v[vgprLocalWriteAddrB], v[vgprG2LB+2:vgprG2LB+2+1] offset:2176 // lwoB_0_0_1_0 = (0*LSCB)*(MT1J+PAD) + (1*LSPB) = 2176
v_mfma_f32_16x16x16_bf16 a[84+0:87+0], v[vgprValuB_X2_I0+10+0+0:vgprValuB_X2_I0+10+0+0+1], v[vgprValuA_X2_I0+2+0+0:vgprValuA_X2_I0+2+0+0+1], a[84:87]
/*  mfmaIndex:135  */
_buffer_load_b64 v[vgprG2LB+2:vgprG2LB+2+1], v[vgprGlobalReadOffsetB+0], s[sgprSrdB:sgprSrdB+3], s[sgprScalarGlobalReadOffsetB+0], offen offset:0 // G -> Reg 0_0_1_0
v_mfma_f32_16x16x16_bf16 a[80+0:83+0], v[vgprValuB_X2_I0+10+0+0:vgprValuB_X2_I0+10+0+0+1], v[vgprValuA_X2_I0+0+0+0:vgprValuA_X2_I0+0+0+0+1], a[80:83]
/*  mfmaIndex:136  */
v_mfma_f32_16x16x16_bf16 a[96+0:99+0], v[vgprValuB_X2_I0+12+0+0:vgprValuB_X2_I0+12+0+0+1], v[vgprValuA_X2_I0+0+0+0:vgprValuA_X2_I0+0+0+0+1], a[96:99]
/*  mfmaIndex:137  */
	;; [unrolled: 2-line block ×3, first 2 shown]
/* sched write - iter 2 writesPerItem=1 */
s_waitcnt vmcnt(0)                                 // lgkmcnt=-1 vmcnt=0wait for global read before writing to local
_ds_store_b64 v[vgprLocalWriteAddrB], v[vgprG2LB+4:vgprG2LB+4+1] offset:4352 // lwoB_0_0_2_0 = (0*LSCB)*(MT1J+PAD) + (2*LSPB) = 4352
v_mfma_f32_16x16x16_bf16 a[104+0:107+0], v[vgprValuB_X2_I0+12+0+0:vgprValuB_X2_I0+12+0+0+1], v[vgprValuA_X2_I0+4+0+0:vgprValuA_X2_I0+4+0+0+1], a[104:107]
/*  mfmaIndex:139  */
_buffer_load_b64 v[vgprG2LB+4:vgprG2LB+4+1], v[vgprGlobalReadOffsetB+0], s[sgprSrdB:sgprSrdB+3], s[sgprScalarGlobalReadOffsetB+1], offen offset:0 // G -> Reg 0_0_2_0
v_mfma_f32_16x16x16_bf16 a[108+0:111+0], v[vgprValuB_X2_I0+12+0+0:vgprValuB_X2_I0+12+0+0+1], v[vgprValuA_X2_I0+6+0+0:vgprValuA_X2_I0+6+0+0+1], a[108:111]
/*  mfmaIndex:140  */
v_mfma_f32_16x16x16_bf16 a[124+0:127+0], v[vgprValuB_X2_I0+14+0+0:vgprValuB_X2_I0+14+0+0+1], v[vgprValuA_X2_I0+6+0+0:vgprValuA_X2_I0+6+0+0+1], a[124:127]
/*  mfmaIndex:141  */
v_mfma_f32_16x16x16_bf16 a[120+0:123+0], v[vgprValuB_X2_I0+14+0+0:vgprValuB_X2_I0+14+0+0+1], v[vgprValuA_X2_I0+4+0+0:vgprValuA_X2_I0+4+0+0+1], a[120:123]
/*  mfmaIndex:142  */
/* sched write - iter 2 writesPerItem=1 */
s_waitcnt vmcnt(0)                                 // lgkmcnt=-1 vmcnt=0wait for global read before writing to local
_ds_store_b64 v[vgprLocalWriteAddrB], v[vgprG2LB+6:vgprG2LB+6+1] offset:6528 // lwoB_0_0_3_0 = (0*LSCB)*(MT1J+PAD) + (3*LSPB) = 6528
v_mfma_f32_16x16x16_bf16 a[116+0:119+0], v[vgprValuB_X2_I0+14+0+0:vgprValuB_X2_I0+14+0+0+1], v[vgprValuA_X2_I0+2+0+0:vgprValuA_X2_I0+2+0+0+1], a[116:119]
/*  mfmaIndex:143  */
_buffer_load_b64 v[vgprG2LB+6:vgprG2LB+6+1], v[vgprGlobalReadOffsetB+0], s[sgprSrdB:sgprSrdB+3], s[sgprScalarGlobalReadOffsetB+2], offen offset:0 // G -> Reg 0_0_3_0
v_mfma_f32_16x16x16_bf16 a[112+0:115+0], v[vgprValuB_X2_I0+14+0+0:vgprValuB_X2_I0+14+0+0+1], v[vgprValuA_X2_I0+0+0+0:vgprValuA_X2_I0+0+0+0+1], a[112:115]
/*  mfmaIndex:144  */
v_mfma_f32_16x16x16_bf16 a[128+0:131+0], v[vgprValuB_X2_I0+16+0+0:vgprValuB_X2_I0+16+0+0+1], v[vgprValuA_X2_I0+0+0+0:vgprValuA_X2_I0+0+0+0+1], a[128:131]
/*  mfmaIndex:145  */
	;; [unrolled: 2-line block ×3, first 2 shown]
/* sched write - iter 2 writesPerItem=1 */
s_waitcnt vmcnt(0)                                 // lgkmcnt=-1 vmcnt=0wait for global read before writing to local
_ds_store_b64 v[vgprLocalWriteAddrB], v[vgprG2LB+8:vgprG2LB+8+1] offset:8704 // lwoB_0_0_4_0 = (0*LSCB)*(MT1J+PAD) + (4*LSPB) = 8704
v_mfma_f32_16x16x16_bf16 a[136+0:139+0], v[vgprValuB_X2_I0+16+0+0:vgprValuB_X2_I0+16+0+0+1], v[vgprValuA_X2_I0+4+0+0:vgprValuA_X2_I0+4+0+0+1], a[136:139]
/*  mfmaIndex:147  */
_buffer_load_b64 v[vgprG2LB+8:vgprG2LB+8+1], v[vgprGlobalReadOffsetB+0], s[sgprSrdB:sgprSrdB+3], s[sgprScalarGlobalReadOffsetB+3], offen offset:0 // G -> Reg 0_0_4_0
v_mfma_f32_16x16x16_bf16 a[140+0:143+0], v[vgprValuB_X2_I0+16+0+0:vgprValuB_X2_I0+16+0+0+1], v[vgprValuA_X2_I0+6+0+0:vgprValuA_X2_I0+6+0+0+1], a[140:143]
/*  mfmaIndex:148  */
v_mfma_f32_16x16x16_bf16 a[156+0:159+0], v[vgprValuB_X2_I0+18+0+0:vgprValuB_X2_I0+18+0+0+1], v[vgprValuA_X2_I0+6+0+0:vgprValuA_X2_I0+6+0+0+1], a[156:159]
/*  mfmaIndex:149  */
	;; [unrolled: 2-line block ×3, first 2 shown]
/* sched write - iter 2 writesPerItem=1 */
s_waitcnt vmcnt(0)                                 // lgkmcnt=-1 vmcnt=0wait for global read before writing to local
_ds_store_b64 v[vgprLocalWriteAddrB], v[vgprG2LB+10:vgprG2LB+10+1] offset:10880 // lwoB_0_0_5_0 = (0*LSCB)*(MT1J+PAD) + (5*LSPB) = 10880
v_mfma_f32_16x16x16_bf16 a[148+0:151+0], v[vgprValuB_X2_I0+18+0+0:vgprValuB_X2_I0+18+0+0+1], v[vgprValuA_X2_I0+2+0+0:vgprValuA_X2_I0+2+0+0+1], a[148:151]
/*  mfmaIndex:151  */
_buffer_load_b64 v[vgprG2LB+10:vgprG2LB+10+1], v[vgprGlobalReadOffsetB+0], s[sgprSrdB:sgprSrdB+3], s[sgprScalarGlobalReadOffsetB+4], offen offset:0 // G -> Reg 0_0_5_0
v_mfma_f32_16x16x16_bf16 a[144+0:147+0], v[vgprValuB_X2_I0+18+0+0:vgprValuB_X2_I0+18+0+0+1], v[vgprValuA_X2_I0+0+0+0:vgprValuA_X2_I0+0+0+0+1], a[144:147]
/*  mfmaIndex:152  */
v_mfma_f32_16x16x16_bf16 a[160+0:163+0], v[vgprValuB_X2_I0+20+0+0:vgprValuB_X2_I0+20+0+0+1], v[vgprValuA_X2_I0+0+0+0:vgprValuA_X2_I0+0+0+0+1], a[160:163]
/*  mfmaIndex:153  */
	;; [unrolled: 2-line block ×3, first 2 shown]
/* sched write - iter 2 writesPerItem=1 */
s_waitcnt vmcnt(0)                                 // lgkmcnt=-1 vmcnt=0wait for global read before writing to local
_ds_store_b64 v[vgprLocalWriteAddrB], v[vgprG2LB+12:vgprG2LB+12+1] offset:13056 // lwoB_0_0_6_0 = (0*LSCB)*(MT1J+PAD) + (6*LSPB) = 13056
v_mfma_f32_16x16x16_bf16 a[168+0:171+0], v[vgprValuB_X2_I0+20+0+0:vgprValuB_X2_I0+20+0+0+1], v[vgprValuA_X2_I0+4+0+0:vgprValuA_X2_I0+4+0+0+1], a[168:171]
/*  mfmaIndex:155  */
_buffer_load_b64 v[vgprG2LB+12:vgprG2LB+12+1], v[vgprGlobalReadOffsetB+0], s[sgprSrdB:sgprSrdB+3], s[sgprScalarGlobalReadOffsetB+5], offen offset:0 // G -> Reg 0_0_6_0
v_mfma_f32_16x16x16_bf16 a[172+0:175+0], v[vgprValuB_X2_I0+20+0+0:vgprValuB_X2_I0+20+0+0+1], v[vgprValuA_X2_I0+6+0+0:vgprValuA_X2_I0+6+0+0+1], a[172:175]
/*  mfmaIndex:156  */
v_mfma_f32_16x16x16_bf16 a[188+0:191+0], v[vgprValuB_X2_I0+22+0+0:vgprValuB_X2_I0+22+0+0+1], v[vgprValuA_X2_I0+6+0+0:vgprValuA_X2_I0+6+0+0+1], a[188:191]
/*  mfmaIndex:157  */
	;; [unrolled: 2-line block ×3, first 2 shown]
/* sched write - iter 2 writesPerItem=1 */
s_waitcnt vmcnt(0)                                 // lgkmcnt=-1 vmcnt=0wait for global read before writing to local
_ds_store_b64 v[vgprLocalWriteAddrB], v[vgprG2LB+14:vgprG2LB+14+1] offset:15232 // lwoB_0_0_7_0 = (0*LSCB)*(MT1J+PAD) + (7*LSPB) = 15232
v_mfma_f32_16x16x16_bf16 a[180+0:183+0], v[vgprValuB_X2_I0+22+0+0:vgprValuB_X2_I0+22+0+0+1], v[vgprValuA_X2_I0+2+0+0:vgprValuA_X2_I0+2+0+0+1], a[180:183]
/*  mfmaIndex:159  */
_buffer_load_b64 v[vgprG2LB+14:vgprG2LB+14+1], v[vgprGlobalReadOffsetB+0], s[sgprSrdB:sgprSrdB+3], s[sgprScalarGlobalReadOffsetB+6], offen offset:0 // G -> Reg 0_0_7_0
v_mfma_f32_16x16x16_bf16 a[176+0:179+0], v[vgprValuB_X2_I0+22+0+0:vgprValuB_X2_I0+22+0+0+1], v[vgprValuA_X2_I0+0+0+0:vgprValuA_X2_I0+0+0+0+1], a[176:179]
/*  mfmaIndex:160  */
v_mfma_f32_16x16x16_bf16 a[192+0:195+0], v[vgprValuB_X2_I0+24+0+0:vgprValuB_X2_I0+24+0+0+1], v[vgprValuA_X2_I0+0+0+0:vgprValuA_X2_I0+0+0+0+1], a[192:195]
/*  mfmaIndex:161  */
	;; [unrolled: 2-line block ×3, first 2 shown]
/* sched write - iter 2 writesPerItem=1 */
s_waitcnt vmcnt(0)                                 // lgkmcnt=-1 vmcnt=0wait for global read before writing to local
_ds_store_b64 v[vgprLocalWriteAddrB], v[vgprG2LB+16:vgprG2LB+16+1] offset:17408 // lwoB_0_0_8_0 = (0*LSCB)*(MT1J+PAD) + (8*LSPB) = 17408
v_mfma_f32_16x16x16_bf16 a[200+0:203+0], v[vgprValuB_X2_I0+24+0+0:vgprValuB_X2_I0+24+0+0+1], v[vgprValuA_X2_I0+4+0+0:vgprValuA_X2_I0+4+0+0+1], a[200:203]
/*  mfmaIndex:163  */
_buffer_load_b64 v[vgprG2LB+16:vgprG2LB+16+1], v[vgprGlobalReadOffsetB+0], s[sgprSrdB:sgprSrdB+3], s[sgprScalarGlobalReadOffsetB+7], offen offset:0 // G -> Reg 0_0_8_0
v_mfma_f32_16x16x16_bf16 a[204+0:207+0], v[vgprValuB_X2_I0+24+0+0:vgprValuB_X2_I0+24+0+0+1], v[vgprValuA_X2_I0+6+0+0:vgprValuA_X2_I0+6+0+0+1], a[204:207]
/*  mfmaIndex:164  */
v_mfma_f32_16x16x16_bf16 a[220+0:223+0], v[vgprValuB_X2_I0+26+0+0:vgprValuB_X2_I0+26+0+0+1], v[vgprValuA_X2_I0+6+0+0:vgprValuA_X2_I0+6+0+0+1], a[220:223]
/*  mfmaIndex:165  */
	;; [unrolled: 2-line block ×3, first 2 shown]
/* sched write - iter 2 writesPerItem=1 */
s_waitcnt vmcnt(0)                                 // lgkmcnt=-1 vmcnt=0wait for global read before writing to local
_ds_store_b64 v[vgprLocalWriteAddrB], v[vgprG2LB+18:vgprG2LB+18+1] offset:19584 // lwoB_0_0_9_0 = (0*LSCB)*(MT1J+PAD) + (9*LSPB) = 19584
v_mfma_f32_16x16x16_bf16 a[212+0:215+0], v[vgprValuB_X2_I0+26+0+0:vgprValuB_X2_I0+26+0+0+1], v[vgprValuA_X2_I0+2+0+0:vgprValuA_X2_I0+2+0+0+1], a[212:215]
/*  mfmaIndex:167  */
_buffer_load_b64 v[vgprG2LB+18:vgprG2LB+18+1], v[vgprGlobalReadOffsetB+0], s[sgprSrdB:sgprSrdB+3], s[sgprScalarGlobalReadOffsetB+8], offen offset:0 // G -> Reg 0_0_9_0

/* local read swap offsets a */

/* local read swap offsets b */

/* local read init pointers a */

/* localReadInitPointers */

/* local read init pointers b */

/* localReadInitPointers */
v_mfma_f32_16x16x16_bf16 a[208+0:211+0], v[vgprValuB_X2_I0+26+0+0:vgprValuB_X2_I0+26+0+0+1], v[vgprValuA_X2_I0+0+0+0:vgprValuA_X2_I0+0+0+0+1], a[208:211]


/* iter 3 (swap and reset local write pointers iteration)  */

/*  grEndMfmaIndex:18, lwStartMfmaIndex:98, lwEndMfmaIndex:183  */
/*  numMfmaForLR:35, barrierMfmaIndex:188, LocalWritePerMfma:0.250 */
/*  mfmaIndex:168  */
/* pack scheduling: packAIdx:2, packBIdx:0 */
v_or_b32 v[vgprValuA_X3_I0+0], v[vgprValuA_X3_I0+0], v[vgprValuA_X3_I0_D1+0] // pack two half Vgpr to one Vgpr
v_or_b32 v[vgprValuA_X3_I0+1], v[vgprValuA_X3_I0+1], v[vgprValuA_X3_I0_D1+1] // pack two half Vgpr to one Vgpr
	;; [unrolled: 1-line block ×4, first 2 shown]
v_mfma_f32_16x16x16_bf16 a[0+0:3+0], v[vgprValuB_X3_I0+0+0+0:vgprValuB_X3_I0+0+0+0+1], v[vgprValuA_X3_I0+0+0+0:vgprValuA_X3_I0+0+0+0+1], a[0:3]
/*  mfmaIndex:169  */
/* pack scheduling: packAIdx:4, packBIdx:0 */
v_or_b32 v[vgprValuA_X3_I0+4], v[vgprValuA_X3_I0+4], v[vgprValuA_X3_I0_D1+4] // pack two half Vgpr to one Vgpr
v_or_b32 v[vgprValuA_X3_I0+5], v[vgprValuA_X3_I0+5], v[vgprValuA_X3_I0_D1+5] // pack two half Vgpr to one Vgpr
v_mfma_f32_16x16x16_bf16 a[4+0:7+0], v[vgprValuB_X3_I0+0+0+0:vgprValuB_X3_I0+0+0+0+1], v[vgprValuA_X3_I0+2+0+0:vgprValuA_X3_I0+2+0+0+1], a[4:7]
/*  mfmaIndex:170  */
/* sched write - iter 3 writesPerItem=1 */
s_waitcnt vmcnt(0)                                 // lgkmcnt=-1 vmcnt=0wait for global read before writing to local
_ds_store_b64 v[vgprLocalWriteAddrB], v[vgprG2LB+20:vgprG2LB+20+1] offset:21760 // lwoB_0_0_10_0 = (0*LSCB)*(MT1J+PAD) + (10*LSPB) = 21760
/* pack scheduling: packAIdx:6, packBIdx:0 */
v_or_b32 v[vgprValuA_X3_I0+6], v[vgprValuA_X3_I0+6], v[vgprValuA_X3_I0_D1+6] // pack two half Vgpr to one Vgpr
v_or_b32 v[vgprValuA_X3_I0+7], v[vgprValuA_X3_I0+7], v[vgprValuA_X3_I0_D1+7] // pack two half Vgpr to one Vgpr
v_mfma_f32_16x16x16_bf16 a[8+0:11+0], v[vgprValuB_X3_I0+0+0+0:vgprValuB_X3_I0+0+0+0+1], v[vgprValuA_X3_I0+4+0+0:vgprValuA_X3_I0+4+0+0+1], a[8:11]
/*  mfmaIndex:171  */
_buffer_load_b64 v[vgprG2LB+20:vgprG2LB+20+1], v[vgprGlobalReadOffsetB+0], s[sgprSrdB:sgprSrdB+3], s[sgprScalarGlobalReadOffsetB+9], offen offset:0 // G -> Reg 0_0_10_0
v_mfma_f32_16x16x16_bf16 a[12+0:15+0], v[vgprValuB_X3_I0+0+0+0:vgprValuB_X3_I0+0+0+0+1], v[vgprValuA_X3_I0+6+0+0:vgprValuA_X3_I0+6+0+0+1], a[12:15]
/*  mfmaIndex:172  */
v_mfma_f32_16x16x16_bf16 a[28+0:31+0], v[vgprValuB_X3_I0+2+0+0:vgprValuB_X3_I0+2+0+0+1], v[vgprValuA_X3_I0+6+0+0:vgprValuA_X3_I0+6+0+0+1], a[28:31]
/*  mfmaIndex:173  */
	;; [unrolled: 2-line block ×3, first 2 shown]
/* sched write - iter 3 writesPerItem=1 */
s_waitcnt vmcnt(0)                                 // lgkmcnt=-1 vmcnt=0wait for global read before writing to local
_ds_store_b64 v[vgprLocalWriteAddrB], v[vgprG2LB+22:vgprG2LB+22+1] offset:23936 // lwoB_0_0_11_0 = (0*LSCB)*(MT1J+PAD) + (11*LSPB) = 23936
v_mfma_f32_16x16x16_bf16 a[20+0:23+0], v[vgprValuB_X3_I0+2+0+0:vgprValuB_X3_I0+2+0+0+1], v[vgprValuA_X3_I0+2+0+0:vgprValuA_X3_I0+2+0+0+1], a[20:23]
/*  mfmaIndex:175  */
_buffer_load_b64 v[vgprG2LB+22:vgprG2LB+22+1], v[vgprGlobalReadOffsetB+0], s[sgprSrdB:sgprSrdB+3], s[sgprScalarGlobalReadOffsetB+10], offen offset:0 // G -> Reg 0_0_11_0
v_mfma_f32_16x16x16_bf16 a[16+0:19+0], v[vgprValuB_X3_I0+2+0+0:vgprValuB_X3_I0+2+0+0+1], v[vgprValuA_X3_I0+0+0+0:vgprValuA_X3_I0+0+0+0+1], a[16:19]
/*  mfmaIndex:176  */
v_mfma_f32_16x16x16_bf16 a[32+0:35+0], v[vgprValuB_X3_I0+4+0+0:vgprValuB_X3_I0+4+0+0+1], v[vgprValuA_X3_I0+0+0+0:vgprValuA_X3_I0+0+0+0+1], a[32:35]
/*  mfmaIndex:177  */
	;; [unrolled: 2-line block ×3, first 2 shown]
/* sched write - iter 3 writesPerItem=1 */
s_waitcnt vmcnt(0)                                 // lgkmcnt=-1 vmcnt=0wait for global read before writing to local
_ds_store_b64 v[vgprLocalWriteAddrB], v[vgprG2LB+24:vgprG2LB+24+1] offset:26112 // lwoB_0_0_12_0 = (0*LSCB)*(MT1J+PAD) + (12*LSPB) = 26112
v_mfma_f32_16x16x16_bf16 a[40+0:43+0], v[vgprValuB_X3_I0+4+0+0:vgprValuB_X3_I0+4+0+0+1], v[vgprValuA_X3_I0+4+0+0:vgprValuA_X3_I0+4+0+0+1], a[40:43]
/*  mfmaIndex:179  */
_buffer_load_b64 v[vgprG2LB+24:vgprG2LB+24+1], v[vgprGlobalReadOffsetB+0], s[sgprSrdB:sgprSrdB+3], s[sgprScalarGlobalReadOffsetB+11], offen offset:0 // G -> Reg 0_0_12_0
v_mfma_f32_16x16x16_bf16 a[44+0:47+0], v[vgprValuB_X3_I0+4+0+0:vgprValuB_X3_I0+4+0+0+1], v[vgprValuA_X3_I0+6+0+0:vgprValuA_X3_I0+6+0+0+1], a[44:47]
/*  mfmaIndex:180  */
v_mfma_f32_16x16x16_bf16 a[60+0:63+0], v[vgprValuB_X3_I0+6+0+0:vgprValuB_X3_I0+6+0+0+1], v[vgprValuA_X3_I0+6+0+0:vgprValuA_X3_I0+6+0+0+1], a[60:63]
/*  mfmaIndex:181  */
	;; [unrolled: 2-line block ×3, first 2 shown]
/* sched write - iter 3 writesPerItem=1 */
s_waitcnt vmcnt(0)                                 // lgkmcnt=-1 vmcnt=0wait for global read before writing to local
_ds_store_b64 v[vgprLocalWriteAddrB], v[vgprG2LB+26:vgprG2LB+26+1] offset:28288 // lwoB_0_0_13_0 = (0*LSCB)*(MT1J+PAD) + (13*LSPB) = 28288
v_mfma_f32_16x16x16_bf16 a[52+0:55+0], v[vgprValuB_X3_I0+6+0+0:vgprValuB_X3_I0+6+0+0+1], v[vgprValuA_X3_I0+2+0+0:vgprValuA_X3_I0+2+0+0+1], a[52:55]
/*  mfmaIndex:183  */
_buffer_load_b64 v[vgprG2LB+26:vgprG2LB+26+1], v[vgprGlobalReadOffsetB+0], s[sgprSrdB:sgprSrdB+3], s[sgprScalarGlobalReadOffsetB+12], offen offset:0 // G -> Reg 0_0_13_0

/* local write swap offsets a */

/* local write swap offsets b */
v_mfma_f32_16x16x16_bf16 a[48+0:51+0], v[vgprValuB_X3_I0+6+0+0:vgprValuB_X3_I0+6+0+0+1], v[vgprValuA_X3_I0+0+0+0:vgprValuA_X3_I0+0+0+0+1], a[48:51]
/*  mfmaIndex:184  */
v_mfma_f32_16x16x16_bf16 a[64+0:67+0], v[vgprValuB_X3_I0+8+0+0:vgprValuB_X3_I0+8+0+0+1], v[vgprValuA_X3_I0+0+0+0:vgprValuA_X3_I0+0+0+0+1], a[64:67]
/*  mfmaIndex:185  */
	;; [unrolled: 2-line block ×4, first 2 shown]
v_mfma_f32_16x16x16_bf16 a[76+0:79+0], v[vgprValuB_X3_I0+8+0+0:vgprValuB_X3_I0+8+0+0+1], v[vgprValuA_X3_I0+6+0+0:vgprValuA_X3_I0+6+0+0+1], a[76:79]
s_setprio 0                                        // store optimization
/*  mfmaIndex:188  */
s_waitcnt lgkmcnt(0)                               // lgkmcnt=0 vmcnt=-13wait for local write
// Skip force waitcnt0
s_barrier //
v_mfma_f32_16x16x16_bf16 a[92+0:95+0], v[vgprValuB_X3_I0+10+0+0:vgprValuB_X3_I0+10+0+0+1], v[vgprValuA_X3_I0+6+0+0:vgprValuA_X3_I0+6+0+0+1], a[92:95]
/*  mfmaIndex:189  */
s_setprio 3                                        // store optimization
_ds_load_u16 v[vgprValuA_X0_I0+0], v[vgprLocalReadAddrA] offset:0 // L -> Reg lro=0 swapByteOffset=0 ti=256 vIdx=0 rIdx=0 oIdx=0 buffer=0 iui=0
v_mfma_f32_16x16x16_bf16 a[88+0:91+0], v[vgprValuB_X3_I0+10+0+0:vgprValuB_X3_I0+10+0+0+1], v[vgprValuA_X3_I0+4+0+0:vgprValuA_X3_I0+4+0+0+1], a[88:91]
/*  mfmaIndex:190  */
_ds_load_u16_d16_hi v[vgprValuA_X0_I0_D1+0], v[vgprLocalReadAddrA] offset:512 // L -> Reg lro=0 swapByteOffset=0 ti=256 vIdx=0 rIdx=1 oIdx=0 buffer=0 iui=0
v_mfma_f32_16x16x16_bf16 a[84+0:87+0], v[vgprValuB_X3_I0+10+0+0:vgprValuB_X3_I0+10+0+0+1], v[vgprValuA_X3_I0+2+0+0:vgprValuA_X3_I0+2+0+0+1], a[84:87]
/*  mfmaIndex:191  */
_ds_load_u16 v[vgprValuA_X0_I0+1], v[vgprLocalReadAddrA] offset:1024 // L -> Reg lro=0 swapByteOffset=0 ti=256 vIdx=0 rIdx=2 oIdx=0 buffer=0 iui=0
v_mfma_f32_16x16x16_bf16 a[80+0:83+0], v[vgprValuB_X3_I0+10+0+0:vgprValuB_X3_I0+10+0+0+1], v[vgprValuA_X3_I0+0+0+0:vgprValuA_X3_I0+0+0+0+1], a[80:83]
/*  mfmaIndex:192  */
_ds_load_u16_d16_hi v[vgprValuA_X0_I0_D1+1], v[vgprLocalReadAddrA] offset:1536 // L -> Reg lro=0 swapByteOffset=0 ti=256 vIdx=0 rIdx=3 oIdx=0 buffer=0 iui=0
v_mfma_f32_16x16x16_bf16 a[96+0:99+0], v[vgprValuB_X3_I0+12+0+0:vgprValuB_X3_I0+12+0+0+1], v[vgprValuA_X3_I0+0+0+0:vgprValuA_X3_I0+0+0+0+1], a[96:99]
/*  mfmaIndex:193  */
_ds_load_b64 v[vgprValuB_X0_I0+0:vgprValuB_X0_I0+0+1], v[vgprLocalReadAddrB] offset:0 // L -> Reg lro=0 swapByteOffset=0 ti=16 vIdx=0 rIdx=0 oIdx=0 buffer=0 iui=0
v_mfma_f32_16x16x16_bf16 a[100+0:103+0], v[vgprValuB_X3_I0+12+0+0:vgprValuB_X3_I0+12+0+0+1], v[vgprValuA_X3_I0+2+0+0:vgprValuA_X3_I0+2+0+0+1], a[100:103]
/*  mfmaIndex:194  */
_ds_load_u16 v[vgprValuA_X0_I0+2], v[vgprLocalReadAddrA] offset:2 // L -> Reg lro=0 swapByteOffset=0 ti=256 vIdx=0 rIdx=0 oIdx=0 buffer=0 iui=0
v_mfma_f32_16x16x16_bf16 a[104+0:107+0], v[vgprValuB_X3_I0+12+0+0:vgprValuB_X3_I0+12+0+0+1], v[vgprValuA_X3_I0+4+0+0:vgprValuA_X3_I0+4+0+0+1], a[104:107]
/*  mfmaIndex:195  */
_ds_load_u16_d16_hi v[vgprValuA_X0_I0_D1+2], v[vgprLocalReadAddrA] offset:514 // L -> Reg lro=0 swapByteOffset=0 ti=256 vIdx=0 rIdx=1 oIdx=0 buffer=0 iui=0
v_mfma_f32_16x16x16_bf16 a[108+0:111+0], v[vgprValuB_X3_I0+12+0+0:vgprValuB_X3_I0+12+0+0+1], v[vgprValuA_X3_I0+6+0+0:vgprValuA_X3_I0+6+0+0+1], a[108:111]
/*  mfmaIndex:196  */
_ds_load_u16 v[vgprValuA_X0_I0+3], v[vgprLocalReadAddrA] offset:1026 // L -> Reg lro=0 swapByteOffset=0 ti=256 vIdx=0 rIdx=2 oIdx=0 buffer=0 iui=0
v_mfma_f32_16x16x16_bf16 a[124+0:127+0], v[vgprValuB_X3_I0+14+0+0:vgprValuB_X3_I0+14+0+0+1], v[vgprValuA_X3_I0+6+0+0:vgprValuA_X3_I0+6+0+0+1], a[124:127]
/*  mfmaIndex:197  */
_ds_load_u16_d16_hi v[vgprValuA_X0_I0_D1+3], v[vgprLocalReadAddrA] offset:1538 // L -> Reg lro=0 swapByteOffset=0 ti=256 vIdx=0 rIdx=3 oIdx=0 buffer=0 iui=0
v_mfma_f32_16x16x16_bf16 a[120+0:123+0], v[vgprValuB_X3_I0+14+0+0:vgprValuB_X3_I0+14+0+0+1], v[vgprValuA_X3_I0+4+0+0:vgprValuA_X3_I0+4+0+0+1], a[120:123]
/*  mfmaIndex:198  */
_ds_load_u16 v[vgprValuA_X0_I0+4], v[vgprLocalReadAddrA] offset:4 // L -> Reg lro=0 swapByteOffset=0 ti=256 vIdx=0 rIdx=0 oIdx=0 buffer=0 iui=0
v_mfma_f32_16x16x16_bf16 a[116+0:119+0], v[vgprValuB_X3_I0+14+0+0:vgprValuB_X3_I0+14+0+0+1], v[vgprValuA_X3_I0+2+0+0:vgprValuA_X3_I0+2+0+0+1], a[116:119]
/*  mfmaIndex:199  */
_ds_load_u16_d16_hi v[vgprValuA_X0_I0_D1+4], v[vgprLocalReadAddrA] offset:516 // L -> Reg lro=0 swapByteOffset=0 ti=256 vIdx=0 rIdx=1 oIdx=0 buffer=0 iui=0
v_mfma_f32_16x16x16_bf16 a[112+0:115+0], v[vgprValuB_X3_I0+14+0+0:vgprValuB_X3_I0+14+0+0+1], v[vgprValuA_X3_I0+0+0+0:vgprValuA_X3_I0+0+0+0+1], a[112:115]
/*  mfmaIndex:200  */
_ds_load_u16 v[vgprValuA_X0_I0+5], v[vgprLocalReadAddrA] offset:1028 // L -> Reg lro=0 swapByteOffset=0 ti=256 vIdx=0 rIdx=2 oIdx=0 buffer=0 iui=0
v_mfma_f32_16x16x16_bf16 a[128+0:131+0], v[vgprValuB_X3_I0+16+0+0:vgprValuB_X3_I0+16+0+0+1], v[vgprValuA_X3_I0+0+0+0:vgprValuA_X3_I0+0+0+0+1], a[128:131]
/*  mfmaIndex:201  */
_ds_load_u16_d16_hi v[vgprValuA_X0_I0_D1+5], v[vgprLocalReadAddrA] offset:1540 // L -> Reg lro=0 swapByteOffset=0 ti=256 vIdx=0 rIdx=3 oIdx=0 buffer=0 iui=0
v_mfma_f32_16x16x16_bf16 a[132+0:135+0], v[vgprValuB_X3_I0+16+0+0:vgprValuB_X3_I0+16+0+0+1], v[vgprValuA_X3_I0+2+0+0:vgprValuA_X3_I0+2+0+0+1], a[132:135]
/*  mfmaIndex:202  */
_ds_load_u16 v[vgprValuA_X0_I0+6], v[vgprLocalReadAddrA] offset:6 // L -> Reg lro=0 swapByteOffset=0 ti=256 vIdx=0 rIdx=0 oIdx=0 buffer=0 iui=0
v_mfma_f32_16x16x16_bf16 a[136+0:139+0], v[vgprValuB_X3_I0+16+0+0:vgprValuB_X3_I0+16+0+0+1], v[vgprValuA_X3_I0+4+0+0:vgprValuA_X3_I0+4+0+0+1], a[136:139]
/*  mfmaIndex:203  */
_ds_load_u16_d16_hi v[vgprValuA_X0_I0_D1+6], v[vgprLocalReadAddrA] offset:518 // L -> Reg lro=0 swapByteOffset=0 ti=256 vIdx=0 rIdx=1 oIdx=0 buffer=0 iui=0
v_mfma_f32_16x16x16_bf16 a[140+0:143+0], v[vgprValuB_X3_I0+16+0+0:vgprValuB_X3_I0+16+0+0+1], v[vgprValuA_X3_I0+6+0+0:vgprValuA_X3_I0+6+0+0+1], a[140:143]
/*  mfmaIndex:204  */
_ds_load_u16 v[vgprValuA_X0_I0+7], v[vgprLocalReadAddrA] offset:1030 // L -> Reg lro=0 swapByteOffset=0 ti=256 vIdx=0 rIdx=2 oIdx=0 buffer=0 iui=0
v_mfma_f32_16x16x16_bf16 a[156+0:159+0], v[vgprValuB_X3_I0+18+0+0:vgprValuB_X3_I0+18+0+0+1], v[vgprValuA_X3_I0+6+0+0:vgprValuA_X3_I0+6+0+0+1], a[156:159]
/*  mfmaIndex:205  */
_ds_load_u16_d16_hi v[vgprValuA_X0_I0_D1+7], v[vgprLocalReadAddrA] offset:1542 // L -> Reg lro=0 swapByteOffset=0 ti=256 vIdx=0 rIdx=3 oIdx=0 buffer=0 iui=0
v_mfma_f32_16x16x16_bf16 a[152+0:155+0], v[vgprValuB_X3_I0+18+0+0:vgprValuB_X3_I0+18+0+0+1], v[vgprValuA_X3_I0+4+0+0:vgprValuA_X3_I0+4+0+0+1], a[152:155]
/*  mfmaIndex:206  */
_ds_load_b64 v[vgprValuB_X0_I0+2:vgprValuB_X0_I0+2+1], v[vgprLocalReadAddrB] offset:2176 // L -> Reg lro=0 swapByteOffset=0 ti=16 vIdx=1 rIdx=0 oIdx=0 buffer=0 iui=0
v_mfma_f32_16x16x16_bf16 a[148+0:151+0], v[vgprValuB_X3_I0+18+0+0:vgprValuB_X3_I0+18+0+0+1], v[vgprValuA_X3_I0+2+0+0:vgprValuA_X3_I0+2+0+0+1], a[148:151]
/*  mfmaIndex:207  */
_ds_load_b64 v[vgprValuB_X0_I0+4:vgprValuB_X0_I0+4+1], v[vgprLocalReadAddrB] offset:4352 // L -> Reg lro=0 swapByteOffset=0 ti=16 vIdx=2 rIdx=0 oIdx=0 buffer=0 iui=0
	;; [unrolled: 3-line block ×13, first 2 shown]
v_mfma_f32_16x16x16_bf16 a[200+0:203+0], v[vgprValuB_X3_I0+24+0+0:vgprValuB_X3_I0+24+0+0+1], v[vgprValuA_X3_I0+4+0+0:vgprValuA_X3_I0+4+0+0+1], a[200:203]
/*  mfmaIndex:219  */
v_mfma_f32_16x16x16_bf16 a[204+0:207+0], v[vgprValuB_X3_I0+24+0+0:vgprValuB_X3_I0+24+0+0+1], v[vgprValuA_X3_I0+6+0+0:vgprValuA_X3_I0+6+0+0+1], a[204:207]
/*  mfmaIndex:220  */
	;; [unrolled: 2-line block ×5, first 2 shown]
v_mfma_f32_16x16x16_bf16 a[208+0:211+0], v[vgprValuB_X3_I0+26+0+0:vgprValuB_X3_I0+26+0+0+1], v[vgprValuA_X3_I0+0+0+0:vgprValuA_X3_I0+0+0+0+1], a[208:211]
s_setprio 0                                        // store optimization


/******************************************/
/* Unrolled Loop - End 2/2 (final)        */
/******************************************/


/* closeLoop loopL finalLoop=1 tailLoop=0 */
s_sub_u32 s[sgprLoopCounterL], s[sgprLoopCounterL], 1 // dec counterL
s_cmp_eq_i32 s[sgprLoopCounterL], 0x2              // counterL==2
s_cbranch_scc0 LoopBeginL_1                        // restart LoopL
LoopEndL_evenexit_4: // unroll loop eveniter exit
s_branch LoopEndL_2                                // exit unroll loopL (and skip second exit code)
LoopEndL_oddexit_3: // unroll loop odditer exit

/* Select high bank of LDS */
LoopEndL_2:


/* Before NLL: Check VGPR.checkin for INT8 LW */


/******************************************/
/* Ord. NoGlobalLoadLoop - Begin                                      */
/******************************************/


	;; [unrolled: 1-line block ×3, first 2 shown]
/* iter 0 */

/*  grEndMfmaIndex:18, lwStartMfmaIndex:98, lwEndMfmaIndex:183  */
/*  numMfmaForLR:35, barrierMfmaIndex:188, LocalWritePerMfma:0.250 */
/*  mfmaIndex:0  */
s_waitcnt lgkmcnt(0)                               // lgkmcnt=0 vmcnt=-1wait for prior local read local write old=0, new=0 newLW=0 newLR=0
/* pack scheduling: packAIdx:2, packBIdx:0 */
v_or_b32 v[vgprValuA_X0_I0+0], v[vgprValuA_X0_I0+0], v[vgprValuA_X0_I0_D1+0] // pack two half Vgpr to one Vgpr
v_or_b32 v[vgprValuA_X0_I0+1], v[vgprValuA_X0_I0+1], v[vgprValuA_X0_I0_D1+1] // pack two half Vgpr to one Vgpr
	;; [unrolled: 1-line block ×4, first 2 shown]
v_mfma_f32_16x16x16_bf16 a[0+0:3+0], v[vgprValuB_X0_I0+0+0+0:vgprValuB_X0_I0+0+0+0+1], v[vgprValuA_X0_I0+0+0+0:vgprValuA_X0_I0+0+0+0+1], a[0:3]
/*  mfmaIndex:1  */
_ds_load_u16 v[vgprValuA_X1_I0+0], v[vgprLocalReadAddrA] offset:8192 // L -> Reg lro=4096 swapByteOffset=0 ti=256 vIdx=0 rIdx=0 oIdx=0 buffer=1 iui=0

/* global read inc A loopL */
s_cmp_eq_u32 s[sgprLoopCounterL], s[sgprStaggerUIter] // Is this the wrapIter?
/* pack scheduling: packAIdx:4, packBIdx:0 */
v_or_b32 v[vgprValuA_X0_I0+4], v[vgprValuA_X0_I0+4], v[vgprValuA_X0_I0_D1+4] // pack two half Vgpr to one Vgpr
v_or_b32 v[vgprValuA_X0_I0+5], v[vgprValuA_X0_I0+5], v[vgprValuA_X0_I0_D1+5] // pack two half Vgpr to one Vgpr
v_mfma_f32_16x16x16_bf16 a[4+0:7+0], v[vgprValuB_X0_I0+0+0+0:vgprValuB_X0_I0+0+0+0+1], v[vgprValuA_X0_I0+2+0+0:vgprValuA_X0_I0+2+0+0+1], a[4:7]
/*  mfmaIndex:2  */
_ds_load_u16_d16_hi v[vgprValuA_X1_I0_D1+0], v[vgprLocalReadAddrA] offset:8704 // L -> Reg lro=4096 swapByteOffset=0 ti=256 vIdx=0 rIdx=1 oIdx=0 buffer=1 iui=0
s_cselect_b32 s76, s[sgprWrapUA+0], s[sgprGlobalReadIncsA+0] // incLower <- ?
/* pack scheduling: packAIdx:6, packBIdx:0 */
v_or_b32 v[vgprValuA_X0_I0+6], v[vgprValuA_X0_I0+6], v[vgprValuA_X0_I0_D1+6] // pack two half Vgpr to one Vgpr
v_or_b32 v[vgprValuA_X0_I0+7], v[vgprValuA_X0_I0+7], v[vgprValuA_X0_I0_D1+7] // pack two half Vgpr to one Vgpr
v_mfma_f32_16x16x16_bf16 a[8+0:11+0], v[vgprValuB_X0_I0+0+0+0:vgprValuB_X0_I0+0+0+0+1], v[vgprValuA_X0_I0+4+0+0:vgprValuA_X0_I0+4+0+0+1], a[8:11]
/*  mfmaIndex:3  */
_ds_load_u16 v[vgprValuA_X1_I0+1], v[vgprLocalReadAddrA] offset:9216 // L -> Reg lro=4096 swapByteOffset=0 ti=256 vIdx=0 rIdx=2 oIdx=0 buffer=1 iui=0
s_cselect_b32 s77, s[sgprWrapUA+1], 0              // incUpper <- ?
v_mfma_f32_16x16x16_bf16 a[12+0:15+0], v[vgprValuB_X0_I0+0+0+0:vgprValuB_X0_I0+0+0+0+1], v[vgprValuA_X0_I0+6+0+0:vgprValuA_X0_I0+6+0+0+1], a[12:15]
/*  mfmaIndex:4  */
_ds_load_u16_d16_hi v[vgprValuA_X1_I0_D1+1], v[vgprLocalReadAddrA] offset:9728 // L -> Reg lro=4096 swapByteOffset=0 ti=256 vIdx=0 rIdx=3 oIdx=0 buffer=1 iui=0
s_add_u32 s[sgprSrdA+0], s[sgprSrdA+0], s76        // gra SRD += inc(lower)
v_mfma_f32_16x16x16_bf16 a[28+0:31+0], v[vgprValuB_X0_I0+2+0+0:vgprValuB_X0_I0+2+0+0+1], v[vgprValuA_X0_I0+6+0+0:vgprValuA_X0_I0+6+0+0+1], a[28:31]
/*  mfmaIndex:5  */
_ds_load_b64 v[vgprValuB_X1_I0+0:vgprValuB_X1_I0+0+1], v[vgprLocalReadAddrB] offset:32 // L -> Reg lro=16 swapByteOffset=0 ti=16 vIdx=0 rIdx=0 oIdx=0 buffer=1 iui=0
s_addc_u32  s[sgprSrdA+1], s[sgprSrdA+1], s77      // gra SRD += inc(upper)
v_mfma_f32_16x16x16_bf16 a[24+0:27+0], v[vgprValuB_X0_I0+2+0+0:vgprValuB_X0_I0+2+0+0+1], v[vgprValuA_X0_I0+4+0+0:vgprValuA_X0_I0+4+0+0+1], a[24:27]
/*  mfmaIndex:6  */
_ds_load_u16 v[vgprValuA_X1_I0+2], v[vgprLocalReadAddrA] offset:8194 // L -> Reg lro=4096 swapByteOffset=0 ti=256 vIdx=0 rIdx=0 oIdx=0 buffer=1 iui=0
s_sub_u32 s[sgprShadowLimitA+0], s[sgprShadowLimitA+0], s76 // limit -= inc)
v_mfma_f32_16x16x16_bf16 a[20+0:23+0], v[vgprValuB_X0_I0+2+0+0:vgprValuB_X0_I0+2+0+0+1], v[vgprValuA_X0_I0+2+0+0:vgprValuA_X0_I0+2+0+0+1], a[20:23]
/*  mfmaIndex:7  */
_ds_load_u16_d16_hi v[vgprValuA_X1_I0_D1+2], v[vgprLocalReadAddrA] offset:8706 // L -> Reg lro=4096 swapByteOffset=0 ti=256 vIdx=0 rIdx=1 oIdx=0 buffer=1 iui=0
s_subb_u32 s[sgprShadowLimitA+1], s[sgprShadowLimitA+1], s77 // limit -= inc)
v_mfma_f32_16x16x16_bf16 a[16+0:19+0], v[vgprValuB_X0_I0+2+0+0:vgprValuB_X0_I0+2+0+0+1], v[vgprValuA_X0_I0+0+0+0:vgprValuA_X0_I0+0+0+0+1], a[16:19]
/*  mfmaIndex:8  */
_ds_load_u16 v[vgprValuA_X1_I0+3], v[vgprLocalReadAddrA] offset:9218 // L -> Reg lro=4096 swapByteOffset=0 ti=256 vIdx=0 rIdx=2 oIdx=0 buffer=1 iui=0
s_cmp_eq_u32 s[sgprShadowLimitA+1], 0              // are we within 2^32?
v_mfma_f32_16x16x16_bf16 a[32+0:35+0], v[vgprValuB_X0_I0+4+0+0:vgprValuB_X0_I0+4+0+0+1], v[vgprValuA_X0_I0+0+0+0:vgprValuA_X0_I0+0+0+0+1], a[32:35]
/*  mfmaIndex:9  */
_ds_load_u16_d16_hi v[vgprValuA_X1_I0_D1+3], v[vgprLocalReadAddrA] offset:9730 // L -> Reg lro=4096 swapByteOffset=0 ti=256 vIdx=0 rIdx=3 oIdx=0 buffer=1 iui=0
s_cselect_b32 s[sgprSrdA+2], s[sgprShadowLimitA+0], BufferLimitA // Move shadow to real if we are within 2^32
v_mfma_f32_16x16x16_bf16 a[36+0:39+0], v[vgprValuB_X0_I0+4+0+0:vgprValuB_X0_I0+4+0+0+1], v[vgprValuA_X0_I0+2+0+0:vgprValuA_X0_I0+2+0+0+1], a[36:39]
/*  mfmaIndex:10  */
_ds_load_u16 v[vgprValuA_X1_I0+4], v[vgprLocalReadAddrA] offset:8196 // L -> Reg lro=4096 swapByteOffset=0 ti=256 vIdx=0 rIdx=0 oIdx=0 buffer=1 iui=0

/* global read inc B loopL */
s_cmp_eq_u32 s[sgprLoopCounterL], s[sgprStaggerUIter] // Is this the wrapIter?
v_mfma_f32_16x16x16_bf16 a[40+0:43+0], v[vgprValuB_X0_I0+4+0+0:vgprValuB_X0_I0+4+0+0+1], v[vgprValuA_X0_I0+4+0+0:vgprValuA_X0_I0+4+0+0+1], a[40:43]
/*  mfmaIndex:11  */
_ds_load_u16_d16_hi v[vgprValuA_X1_I0_D1+4], v[vgprLocalReadAddrA] offset:8708 // L -> Reg lro=4096 swapByteOffset=0 ti=256 vIdx=0 rIdx=1 oIdx=0 buffer=1 iui=0
s_cselect_b32 s76, s[sgprWrapUB+0], s[sgprGlobalReadIncsB+0] // incLower <- ?
v_mfma_f32_16x16x16_bf16 a[44+0:47+0], v[vgprValuB_X0_I0+4+0+0:vgprValuB_X0_I0+4+0+0+1], v[vgprValuA_X0_I0+6+0+0:vgprValuA_X0_I0+6+0+0+1], a[44:47]
/*  mfmaIndex:12  */
_ds_load_u16 v[vgprValuA_X1_I0+5], v[vgprLocalReadAddrA] offset:9220 // L -> Reg lro=4096 swapByteOffset=0 ti=256 vIdx=0 rIdx=2 oIdx=0 buffer=1 iui=0
s_cselect_b32 s77, s[sgprWrapUB+1], 0              // incUpper <- ?
v_mfma_f32_16x16x16_bf16 a[60+0:63+0], v[vgprValuB_X0_I0+6+0+0:vgprValuB_X0_I0+6+0+0+1], v[vgprValuA_X0_I0+6+0+0:vgprValuA_X0_I0+6+0+0+1], a[60:63]
/*  mfmaIndex:13  */
_ds_load_u16_d16_hi v[vgprValuA_X1_I0_D1+5], v[vgprLocalReadAddrA] offset:9732 // L -> Reg lro=4096 swapByteOffset=0 ti=256 vIdx=0 rIdx=3 oIdx=0 buffer=1 iui=0
s_add_u32 s[sgprSrdB+0], s[sgprSrdB+0], s76        // gra SRD += inc(lower)
v_mfma_f32_16x16x16_bf16 a[56+0:59+0], v[vgprValuB_X0_I0+6+0+0:vgprValuB_X0_I0+6+0+0+1], v[vgprValuA_X0_I0+4+0+0:vgprValuA_X0_I0+4+0+0+1], a[56:59]
/*  mfmaIndex:14  */
_ds_load_u16 v[vgprValuA_X1_I0+6], v[vgprLocalReadAddrA] offset:8198 // L -> Reg lro=4096 swapByteOffset=0 ti=256 vIdx=0 rIdx=0 oIdx=0 buffer=1 iui=0
s_addc_u32  s[sgprSrdB+1], s[sgprSrdB+1], s77      // gra SRD += inc(upper)
v_mfma_f32_16x16x16_bf16 a[52+0:55+0], v[vgprValuB_X0_I0+6+0+0:vgprValuB_X0_I0+6+0+0+1], v[vgprValuA_X0_I0+2+0+0:vgprValuA_X0_I0+2+0+0+1], a[52:55]
/*  mfmaIndex:15  */
_ds_load_u16_d16_hi v[vgprValuA_X1_I0_D1+6], v[vgprLocalReadAddrA] offset:8710 // L -> Reg lro=4096 swapByteOffset=0 ti=256 vIdx=0 rIdx=1 oIdx=0 buffer=1 iui=0
s_sub_u32 s[sgprShadowLimitB+0], s[sgprShadowLimitB+0], s76 // limit -= inc)
v_mfma_f32_16x16x16_bf16 a[48+0:51+0], v[vgprValuB_X0_I0+6+0+0:vgprValuB_X0_I0+6+0+0+1], v[vgprValuA_X0_I0+0+0+0:vgprValuA_X0_I0+0+0+0+1], a[48:51]
/*  mfmaIndex:16  */
_ds_load_u16 v[vgprValuA_X1_I0+7], v[vgprLocalReadAddrA] offset:9222 // L -> Reg lro=4096 swapByteOffset=0 ti=256 vIdx=0 rIdx=2 oIdx=0 buffer=1 iui=0
s_subb_u32 s[sgprShadowLimitB+1], s[sgprShadowLimitB+1], s77 // limit -= inc)
v_mfma_f32_16x16x16_bf16 a[64+0:67+0], v[vgprValuB_X0_I0+8+0+0:vgprValuB_X0_I0+8+0+0+1], v[vgprValuA_X0_I0+0+0+0:vgprValuA_X0_I0+0+0+0+1], a[64:67]
/*  mfmaIndex:17  */
_ds_load_u16_d16_hi v[vgprValuA_X1_I0_D1+7], v[vgprLocalReadAddrA] offset:9734 // L -> Reg lro=4096 swapByteOffset=0 ti=256 vIdx=0 rIdx=3 oIdx=0 buffer=1 iui=0
s_cmp_eq_u32 s[sgprShadowLimitB+1], 0              // are we within 2^32?
v_mfma_f32_16x16x16_bf16 a[68+0:71+0], v[vgprValuB_X0_I0+8+0+0:vgprValuB_X0_I0+8+0+0+1], v[vgprValuA_X0_I0+2+0+0:vgprValuA_X0_I0+2+0+0+1], a[68:71]
/*  mfmaIndex:18  */
_ds_load_b64 v[vgprValuB_X1_I0+2:vgprValuB_X1_I0+2+1], v[vgprLocalReadAddrB] offset:2208 // L -> Reg lro=16 swapByteOffset=0 ti=16 vIdx=1 rIdx=0 oIdx=0 buffer=1 iui=0
s_cselect_b32 s[sgprSrdB+2], s[sgprShadowLimitB+0], BufferLimitB // Move shadow to real if we are within 2^32
v_mfma_f32_16x16x16_bf16 a[72+0:75+0], v[vgprValuB_X0_I0+8+0+0:vgprValuB_X0_I0+8+0+0+1], v[vgprValuA_X0_I0+4+0+0:vgprValuA_X0_I0+4+0+0+1], a[72:75]
/*  mfmaIndex:19  */
_ds_load_b64 v[vgprValuB_X1_I0+4:vgprValuB_X1_I0+4+1], v[vgprLocalReadAddrB] offset:4384 // L -> Reg lro=16 swapByteOffset=0 ti=16 vIdx=2 rIdx=0 oIdx=0 buffer=1 iui=0
v_mfma_f32_16x16x16_bf16 a[76+0:79+0], v[vgprValuB_X0_I0+8+0+0:vgprValuB_X0_I0+8+0+0+1], v[vgprValuA_X0_I0+6+0+0:vgprValuA_X0_I0+6+0+0+1], a[76:79]
/*  mfmaIndex:20  */
_ds_load_b64 v[vgprValuB_X1_I0+6:vgprValuB_X1_I0+6+1], v[vgprLocalReadAddrB] offset:6560 // L -> Reg lro=16 swapByteOffset=0 ti=16 vIdx=3 rIdx=0 oIdx=0 buffer=1 iui=0
	;; [unrolled: 3-line block ×12, first 2 shown]
v_mfma_f32_16x16x16_bf16 a[116+0:119+0], v[vgprValuB_X0_I0+14+0+0:vgprValuB_X0_I0+14+0+0+1], v[vgprValuA_X0_I0+2+0+0:vgprValuA_X0_I0+2+0+0+1], a[116:119]
/*  mfmaIndex:31  */
/* localReadsVacancy: latencyLeft 2 */
_ds_load_u16 v[vgprValuA_X2_I0+0], v[vgprLocalReadAddrA] offset:16384 // L -> Reg lro=8192 swapByteOffset=0 ti=256 vIdx=0 rIdx=0 oIdx=0 buffer=2 iui=0
v_mfma_f32_16x16x16_bf16 a[112+0:115+0], v[vgprValuB_X0_I0+14+0+0:vgprValuB_X0_I0+14+0+0+1], v[vgprValuA_X0_I0+0+0+0:vgprValuA_X0_I0+0+0+0+1], a[112:115]
/*  mfmaIndex:32  */
/* localReadsVacancy: latencyLeft 2 */
_ds_load_u16_d16_hi v[vgprValuA_X2_I0_D1+0], v[vgprLocalReadAddrA] offset:16896 // L -> Reg lro=8192 swapByteOffset=0 ti=256 vIdx=0 rIdx=1 oIdx=0 buffer=2 iui=0
v_mfma_f32_16x16x16_bf16 a[128+0:131+0], v[vgprValuB_X0_I0+16+0+0:vgprValuB_X0_I0+16+0+0+1], v[vgprValuA_X0_I0+0+0+0:vgprValuA_X0_I0+0+0+0+1], a[128:131]
/*  mfmaIndex:33  */
/* localReadsVacancy: latencyLeft 2 */
_ds_load_u16 v[vgprValuA_X2_I0+1], v[vgprLocalReadAddrA] offset:17408 // L -> Reg lro=8192 swapByteOffset=0 ti=256 vIdx=0 rIdx=2 oIdx=0 buffer=2 iui=0
v_mfma_f32_16x16x16_bf16 a[132+0:135+0], v[vgprValuB_X0_I0+16+0+0:vgprValuB_X0_I0+16+0+0+1], v[vgprValuA_X0_I0+2+0+0:vgprValuA_X0_I0+2+0+0+1], a[132:135]
/*  mfmaIndex:34  */
/* localReadsVacancy: latencyLeft 2 */
_ds_load_u16_d16_hi v[vgprValuA_X2_I0_D1+1], v[vgprLocalReadAddrA] offset:17920 // L -> Reg lro=8192 swapByteOffset=0 ti=256 vIdx=0 rIdx=3 oIdx=0 buffer=2 iui=0
v_mfma_f32_16x16x16_bf16 a[136+0:139+0], v[vgprValuB_X0_I0+16+0+0:vgprValuB_X0_I0+16+0+0+1], v[vgprValuA_X0_I0+4+0+0:vgprValuA_X0_I0+4+0+0+1], a[136:139]
/*  mfmaIndex:35  */
/* localReadsVacancy: latencyLeft 2 */
_ds_load_b64 v[vgprValuB_X2_I0+0:vgprValuB_X2_I0+0+1], v[vgprLocalReadAddrB] offset:64 // L -> Reg lro=32 swapByteOffset=0 ti=16 vIdx=0 rIdx=0 oIdx=0 buffer=2 iui=0
v_mfma_f32_16x16x16_bf16 a[140+0:143+0], v[vgprValuB_X0_I0+16+0+0:vgprValuB_X0_I0+16+0+0+1], v[vgprValuA_X0_I0+6+0+0:vgprValuA_X0_I0+6+0+0+1], a[140:143]
/*  mfmaIndex:36  */
/* localReadsVacancy: latencyLeft 2 */
_ds_load_u16 v[vgprValuA_X2_I0+2], v[vgprLocalReadAddrA] offset:16386 // L -> Reg lro=8192 swapByteOffset=0 ti=256 vIdx=0 rIdx=0 oIdx=0 buffer=2 iui=0
v_mfma_f32_16x16x16_bf16 a[156+0:159+0], v[vgprValuB_X0_I0+18+0+0:vgprValuB_X0_I0+18+0+0+1], v[vgprValuA_X0_I0+6+0+0:vgprValuA_X0_I0+6+0+0+1], a[156:159]
/*  mfmaIndex:37  */
/* localReadsVacancy: latencyLeft 2 */
_ds_load_u16_d16_hi v[vgprValuA_X2_I0_D1+2], v[vgprLocalReadAddrA] offset:16898 // L -> Reg lro=8192 swapByteOffset=0 ti=256 vIdx=0 rIdx=1 oIdx=0 buffer=2 iui=0
v_mfma_f32_16x16x16_bf16 a[152+0:155+0], v[vgprValuB_X0_I0+18+0+0:vgprValuB_X0_I0+18+0+0+1], v[vgprValuA_X0_I0+4+0+0:vgprValuA_X0_I0+4+0+0+1], a[152:155]
/*  mfmaIndex:38  */
/* localReadsVacancy: latencyLeft 2 */
_ds_load_u16 v[vgprValuA_X2_I0+3], v[vgprLocalReadAddrA] offset:17410 // L -> Reg lro=8192 swapByteOffset=0 ti=256 vIdx=0 rIdx=2 oIdx=0 buffer=2 iui=0
v_mfma_f32_16x16x16_bf16 a[148+0:151+0], v[vgprValuB_X0_I0+18+0+0:vgprValuB_X0_I0+18+0+0+1], v[vgprValuA_X0_I0+2+0+0:vgprValuA_X0_I0+2+0+0+1], a[148:151]
/*  mfmaIndex:39  */
/* localReadsVacancy: latencyLeft 2 */
_ds_load_u16_d16_hi v[vgprValuA_X2_I0_D1+3], v[vgprLocalReadAddrA] offset:17922 // L -> Reg lro=8192 swapByteOffset=0 ti=256 vIdx=0 rIdx=3 oIdx=0 buffer=2 iui=0
	;; [unrolled: 8-line block ×6, first 2 shown]
v_mfma_f32_16x16x16_bf16 a[176+0:179+0], v[vgprValuB_X0_I0+22+0+0:vgprValuB_X0_I0+22+0+0+1], v[vgprValuA_X0_I0+0+0+0:vgprValuA_X0_I0+0+0+0+1], a[176:179]
/*  mfmaIndex:48  */
/* localReadsVacancy: latencyLeft 2 */
_ds_load_b64 v[vgprValuB_X2_I0+2:vgprValuB_X2_I0+2+1], v[vgprLocalReadAddrB] offset:2240 // L -> Reg lro=32 swapByteOffset=0 ti=16 vIdx=1 rIdx=0 oIdx=0 buffer=2 iui=0
v_mfma_f32_16x16x16_bf16 a[192+0:195+0], v[vgprValuB_X0_I0+24+0+0:vgprValuB_X0_I0+24+0+0+1], v[vgprValuA_X0_I0+0+0+0:vgprValuA_X0_I0+0+0+0+1], a[192:195]
/*  mfmaIndex:49  */
/* localReadsVacancy: latencyLeft 2 */
_ds_load_b64 v[vgprValuB_X2_I0+4:vgprValuB_X2_I0+4+1], v[vgprLocalReadAddrB] offset:4416 // L -> Reg lro=32 swapByteOffset=0 ti=16 vIdx=2 rIdx=0 oIdx=0 buffer=2 iui=0
	;; [unrolled: 4-line block ×8, first 2 shown]
v_mfma_f32_16x16x16_bf16 a[208+0:211+0], v[vgprValuB_X0_I0+26+0+0:vgprValuB_X0_I0+26+0+0+1], v[vgprValuA_X0_I0+0+0+0:vgprValuA_X0_I0+0+0+0+1], a[208:211]
/* numPrefetchIter=0 */
/* dataAtIterA=-1 numReadsIterA=1 skipReadsIterA=1 readsPerIterA=16 */
/* dataAtIterB=-1 numReadsIterB=1 skipReadsIterB=1 readsPerIterB=14 */


/* iter 1 */

/*  grEndMfmaIndex:18, lwStartMfmaIndex:98, lwEndMfmaIndex:183  */
/*  numMfmaForLR:35, barrierMfmaIndex:188, LocalWritePerMfma:0.250 */
/*  mfmaIndex:56  */
_ds_load_b64 v[vgprValuB_X2_I0+18:vgprValuB_X2_I0+18+1], v[vgprLocalReadAddrB] offset:19648 // L -> Reg lro=32 swapByteOffset=0 ti=16 vIdx=9 rIdx=0 oIdx=0 buffer=2 iui=0
s_waitcnt lgkmcnt(15)                              // lgkmcnt=0 vmcnt=-1wait for prior local read local write old=25, new=26 newLW=0 newLR=1
/* pack scheduling: packAIdx:2, packBIdx:0 */
v_or_b32 v[vgprValuA_X1_I0+0], v[vgprValuA_X1_I0+0], v[vgprValuA_X1_I0_D1+0] // pack two half Vgpr to one Vgpr
v_or_b32 v[vgprValuA_X1_I0+1], v[vgprValuA_X1_I0+1], v[vgprValuA_X1_I0_D1+1] // pack two half Vgpr to one Vgpr
	;; [unrolled: 1-line block ×4, first 2 shown]
v_mfma_f32_16x16x16_bf16 a[0+0:3+0], v[vgprValuB_X1_I0+0+0+0:vgprValuB_X1_I0+0+0+0+1], v[vgprValuA_X1_I0+0+0+0:vgprValuA_X1_I0+0+0+0+1], a[0:3]
/*  mfmaIndex:57  */
_ds_load_b64 v[vgprValuB_X2_I0+20:vgprValuB_X2_I0+20+1], v[vgprLocalReadAddrB] offset:21824 // L -> Reg lro=32 swapByteOffset=0 ti=16 vIdx=10 rIdx=0 oIdx=0 buffer=2 iui=0
/* pack scheduling: packAIdx:4, packBIdx:0 */
v_or_b32 v[vgprValuA_X1_I0+4], v[vgprValuA_X1_I0+4], v[vgprValuA_X1_I0_D1+4] // pack two half Vgpr to one Vgpr
v_or_b32 v[vgprValuA_X1_I0+5], v[vgprValuA_X1_I0+5], v[vgprValuA_X1_I0_D1+5] // pack two half Vgpr to one Vgpr
v_mfma_f32_16x16x16_bf16 a[4+0:7+0], v[vgprValuB_X1_I0+0+0+0:vgprValuB_X1_I0+0+0+0+1], v[vgprValuA_X1_I0+2+0+0:vgprValuA_X1_I0+2+0+0+1], a[4:7]
/*  mfmaIndex:58  */
_ds_load_b64 v[vgprValuB_X2_I0+22:vgprValuB_X2_I0+22+1], v[vgprLocalReadAddrB] offset:24000 // L -> Reg lro=32 swapByteOffset=0 ti=16 vIdx=11 rIdx=0 oIdx=0 buffer=2 iui=0
/* pack scheduling: packAIdx:6, packBIdx:0 */
v_or_b32 v[vgprValuA_X1_I0+6], v[vgprValuA_X1_I0+6], v[vgprValuA_X1_I0_D1+6] // pack two half Vgpr to one Vgpr
v_or_b32 v[vgprValuA_X1_I0+7], v[vgprValuA_X1_I0+7], v[vgprValuA_X1_I0_D1+7] // pack two half Vgpr to one Vgpr
v_mfma_f32_16x16x16_bf16 a[8+0:11+0], v[vgprValuB_X1_I0+0+0+0:vgprValuB_X1_I0+0+0+0+1], v[vgprValuA_X1_I0+4+0+0:vgprValuA_X1_I0+4+0+0+1], a[8:11]
/*  mfmaIndex:59  */
_ds_load_b64 v[vgprValuB_X2_I0+24:vgprValuB_X2_I0+24+1], v[vgprLocalReadAddrB] offset:26176 // L -> Reg lro=32 swapByteOffset=0 ti=16 vIdx=12 rIdx=0 oIdx=0 buffer=2 iui=0
v_mfma_f32_16x16x16_bf16 a[12+0:15+0], v[vgprValuB_X1_I0+0+0+0:vgprValuB_X1_I0+0+0+0+1], v[vgprValuA_X1_I0+6+0+0:vgprValuA_X1_I0+6+0+0+1], a[12:15]
/*  mfmaIndex:60  */
_ds_load_b64 v[vgprValuB_X2_I0+26:vgprValuB_X2_I0+26+1], v[vgprLocalReadAddrB] offset:28352 // L -> Reg lro=32 swapByteOffset=0 ti=16 vIdx=13 rIdx=0 oIdx=0 buffer=2 iui=0
v_mfma_f32_16x16x16_bf16 a[28+0:31+0], v[vgprValuB_X1_I0+2+0+0:vgprValuB_X1_I0+2+0+0+1], v[vgprValuA_X1_I0+6+0+0:vgprValuA_X1_I0+6+0+0+1], a[28:31]
/*  mfmaIndex:61  */
/* localReadsVacancy: latencyLeft 2 */
_ds_load_u16 v[vgprValuA_X3_I0+0], v[vgprLocalReadAddrA] offset:24576 // L -> Reg lro=12288 swapByteOffset=0 ti=256 vIdx=0 rIdx=0 oIdx=0 buffer=3 iui=0
v_mfma_f32_16x16x16_bf16 a[24+0:27+0], v[vgprValuB_X1_I0+2+0+0:vgprValuB_X1_I0+2+0+0+1], v[vgprValuA_X1_I0+4+0+0:vgprValuA_X1_I0+4+0+0+1], a[24:27]
/*  mfmaIndex:62  */
/* localReadsVacancy: latencyLeft 2 */
_ds_load_u16_d16_hi v[vgprValuA_X3_I0_D1+0], v[vgprLocalReadAddrA] offset:25088 // L -> Reg lro=12288 swapByteOffset=0 ti=256 vIdx=0 rIdx=1 oIdx=0 buffer=3 iui=0
v_mfma_f32_16x16x16_bf16 a[20+0:23+0], v[vgprValuB_X1_I0+2+0+0:vgprValuB_X1_I0+2+0+0+1], v[vgprValuA_X1_I0+2+0+0:vgprValuA_X1_I0+2+0+0+1], a[20:23]
/*  mfmaIndex:63  */
/* localReadsVacancy: latencyLeft 2 */
_ds_load_u16 v[vgprValuA_X3_I0+1], v[vgprLocalReadAddrA] offset:25600 // L -> Reg lro=12288 swapByteOffset=0 ti=256 vIdx=0 rIdx=2 oIdx=0 buffer=3 iui=0
v_mfma_f32_16x16x16_bf16 a[16+0:19+0], v[vgprValuB_X1_I0+2+0+0:vgprValuB_X1_I0+2+0+0+1], v[vgprValuA_X1_I0+0+0+0:vgprValuA_X1_I0+0+0+0+1], a[16:19]
/*  mfmaIndex:64  */
/* localReadsVacancy: latencyLeft 2 */
_ds_load_u16_d16_hi v[vgprValuA_X3_I0_D1+1], v[vgprLocalReadAddrA] offset:26112 // L -> Reg lro=12288 swapByteOffset=0 ti=256 vIdx=0 rIdx=3 oIdx=0 buffer=3 iui=0
v_mfma_f32_16x16x16_bf16 a[32+0:35+0], v[vgprValuB_X1_I0+4+0+0:vgprValuB_X1_I0+4+0+0+1], v[vgprValuA_X1_I0+0+0+0:vgprValuA_X1_I0+0+0+0+1], a[32:35]
/*  mfmaIndex:65  */
/* localReadsVacancy: latencyLeft 2 */
_ds_load_b64 v[vgprValuB_X3_I0+0:vgprValuB_X3_I0+0+1], v[vgprLocalReadAddrB] offset:96 // L -> Reg lro=48 swapByteOffset=0 ti=16 vIdx=0 rIdx=0 oIdx=0 buffer=3 iui=0
v_mfma_f32_16x16x16_bf16 a[36+0:39+0], v[vgprValuB_X1_I0+4+0+0:vgprValuB_X1_I0+4+0+0+1], v[vgprValuA_X1_I0+2+0+0:vgprValuA_X1_I0+2+0+0+1], a[36:39]
/*  mfmaIndex:66  */
/* localReadsVacancy: latencyLeft 2 */
_ds_load_u16 v[vgprValuA_X3_I0+2], v[vgprLocalReadAddrA] offset:24578 // L -> Reg lro=12288 swapByteOffset=0 ti=256 vIdx=0 rIdx=0 oIdx=0 buffer=3 iui=0
v_mfma_f32_16x16x16_bf16 a[40+0:43+0], v[vgprValuB_X1_I0+4+0+0:vgprValuB_X1_I0+4+0+0+1], v[vgprValuA_X1_I0+4+0+0:vgprValuA_X1_I0+4+0+0+1], a[40:43]
/*  mfmaIndex:67  */
/* localReadsVacancy: latencyLeft 2 */
_ds_load_u16_d16_hi v[vgprValuA_X3_I0_D1+2], v[vgprLocalReadAddrA] offset:25090 // L -> Reg lro=12288 swapByteOffset=0 ti=256 vIdx=0 rIdx=1 oIdx=0 buffer=3 iui=0
v_mfma_f32_16x16x16_bf16 a[44+0:47+0], v[vgprValuB_X1_I0+4+0+0:vgprValuB_X1_I0+4+0+0+1], v[vgprValuA_X1_I0+6+0+0:vgprValuA_X1_I0+6+0+0+1], a[44:47]
/*  mfmaIndex:68  */
/* localReadsVacancy: latencyLeft 2 */
_ds_load_u16 v[vgprValuA_X3_I0+3], v[vgprLocalReadAddrA] offset:25602 // L -> Reg lro=12288 swapByteOffset=0 ti=256 vIdx=0 rIdx=2 oIdx=0 buffer=3 iui=0
v_mfma_f32_16x16x16_bf16 a[60+0:63+0], v[vgprValuB_X1_I0+6+0+0:vgprValuB_X1_I0+6+0+0+1], v[vgprValuA_X1_I0+6+0+0:vgprValuA_X1_I0+6+0+0+1], a[60:63]
/*  mfmaIndex:69  */
/* localReadsVacancy: latencyLeft 2 */
_ds_load_u16_d16_hi v[vgprValuA_X3_I0_D1+3], v[vgprLocalReadAddrA] offset:26114 // L -> Reg lro=12288 swapByteOffset=0 ti=256 vIdx=0 rIdx=3 oIdx=0 buffer=3 iui=0
	;; [unrolled: 8-line block ×6, first 2 shown]
v_mfma_f32_16x16x16_bf16 a[88+0:91+0], v[vgprValuB_X1_I0+10+0+0:vgprValuB_X1_I0+10+0+0+1], v[vgprValuA_X1_I0+4+0+0:vgprValuA_X1_I0+4+0+0+1], a[88:91]
/*  mfmaIndex:78  */
/* localReadsVacancy: latencyLeft 2 */
_ds_load_b64 v[vgprValuB_X3_I0+2:vgprValuB_X3_I0+2+1], v[vgprLocalReadAddrB] offset:2272 // L -> Reg lro=48 swapByteOffset=0 ti=16 vIdx=1 rIdx=0 oIdx=0 buffer=3 iui=0
v_mfma_f32_16x16x16_bf16 a[84+0:87+0], v[vgprValuB_X1_I0+10+0+0:vgprValuB_X1_I0+10+0+0+1], v[vgprValuA_X1_I0+2+0+0:vgprValuA_X1_I0+2+0+0+1], a[84:87]
/*  mfmaIndex:79  */
/* localReadsVacancy: latencyLeft 2 */
_ds_load_b64 v[vgprValuB_X3_I0+4:vgprValuB_X3_I0+4+1], v[vgprLocalReadAddrB] offset:4448 // L -> Reg lro=48 swapByteOffset=0 ti=16 vIdx=2 rIdx=0 oIdx=0 buffer=3 iui=0
	;; [unrolled: 4-line block ×13, first 2 shown]
v_mfma_f32_16x16x16_bf16 a[136+0:139+0], v[vgprValuB_X1_I0+16+0+0:vgprValuB_X1_I0+16+0+0+1], v[vgprValuA_X1_I0+4+0+0:vgprValuA_X1_I0+4+0+0+1], a[136:139]
/*  mfmaIndex:91  */
/* localReadsVacancy: latencyLeft 2 */
v_mfma_f32_16x16x16_bf16 a[140+0:143+0], v[vgprValuB_X1_I0+16+0+0:vgprValuB_X1_I0+16+0+0+1], v[vgprValuA_X1_I0+6+0+0:vgprValuA_X1_I0+6+0+0+1], a[140:143]
/*  mfmaIndex:92  */
/* localReadsVacancy: latencyLeft 2 */
	;; [unrolled: 3-line block ×7, first 2 shown]
/* 1 LDS buffer: read-sync-write */
s_waitcnt lgkmcnt(0)                               // 
s_barrier                                          // 
v_mfma_f32_16x16x16_bf16 a[164+0:167+0], v[vgprValuB_X1_I0+20+0+0:vgprValuB_X1_I0+20+0+0+1], v[vgprValuA_X1_I0+2+0+0:vgprValuA_X1_I0+2+0+0+1], a[164:167]
/*  mfmaIndex:98  */
s_setprio 3                                        // store optimization
/* sched write - iter 1 writesPerItem=1 */
s_waitcnt vmcnt(0)                                 // lgkmcnt=-1 vmcnt=0wait for global read before writing to local
_ds_store_b128 v[vgprLocalWriteAddrA], v[vgprG2LA+0:vgprG2LA+0+3] offset:0 // lwoA_0_0_0_0 = (0*LSCA) + (0*LSPA)(*MT0I+PAD) = 0
v_mfma_f32_16x16x16_bf16 a[168+0:171+0], v[vgprValuB_X1_I0+20+0+0:vgprValuB_X1_I0+20+0+0+1], v[vgprValuA_X1_I0+4+0+0:vgprValuA_X1_I0+4+0+0+1], a[168:171]
/*  mfmaIndex:99  */
v_mfma_f32_16x16x16_bf16 a[172+0:175+0], v[vgprValuB_X1_I0+20+0+0:vgprValuB_X1_I0+20+0+0+1], v[vgprValuA_X1_I0+6+0+0:vgprValuA_X1_I0+6+0+0+1], a[172:175]
/*  mfmaIndex:100  */
	;; [unrolled: 2-line block ×4, first 2 shown]
/* sched write - iter 1 writesPerItem=1 */
s_waitcnt vmcnt(0)                                 // lgkmcnt=-1 vmcnt=0wait for global read before writing to local
_ds_store_b128 v[vgprLocalWriteAddrA], v[vgprG2LA+4:vgprG2LA+4+3] offset:256 // lwoA_1_0_0_0 = (1*LSCA) + (0*LSPA)(*MT0I+PAD) = 256
v_mfma_f32_16x16x16_bf16 a[180+0:183+0], v[vgprValuB_X1_I0+22+0+0:vgprValuB_X1_I0+22+0+0+1], v[vgprValuA_X1_I0+2+0+0:vgprValuA_X1_I0+2+0+0+1], a[180:183]
/*  mfmaIndex:103  */
v_mfma_f32_16x16x16_bf16 a[176+0:179+0], v[vgprValuB_X1_I0+22+0+0:vgprValuB_X1_I0+22+0+0+1], v[vgprValuA_X1_I0+0+0+0:vgprValuA_X1_I0+0+0+0+1], a[176:179]
/*  mfmaIndex:104  */
	;; [unrolled: 2-line block ×4, first 2 shown]
/* sched write - iter 1 writesPerItem=1 */
s_waitcnt vmcnt(0)                                 // lgkmcnt=-1 vmcnt=0wait for global read before writing to local
_ds_store_b128 v[vgprLocalWriteAddrA], v[vgprG2LA+8:vgprG2LA+8+3] offset:8192 // lwoA_0_0_1_0 = (0*LSCA) + (1*LSPA)(*MT0I+PAD) = 8192
v_mfma_f32_16x16x16_bf16 a[200+0:203+0], v[vgprValuB_X1_I0+24+0+0:vgprValuB_X1_I0+24+0+0+1], v[vgprValuA_X1_I0+4+0+0:vgprValuA_X1_I0+4+0+0+1], a[200:203]
/*  mfmaIndex:107  */
v_mfma_f32_16x16x16_bf16 a[204+0:207+0], v[vgprValuB_X1_I0+24+0+0:vgprValuB_X1_I0+24+0+0+1], v[vgprValuA_X1_I0+6+0+0:vgprValuA_X1_I0+6+0+0+1], a[204:207]
/*  mfmaIndex:108  */
	;; [unrolled: 2-line block ×4, first 2 shown]
/* sched write - iter 1 writesPerItem=1 */
s_waitcnt vmcnt(0)                                 // lgkmcnt=-1 vmcnt=0wait for global read before writing to local
_ds_store_b128 v[vgprLocalWriteAddrA], v[vgprG2LA+12:vgprG2LA+12+3] offset:8448 // lwoA_1_0_1_0 = (1*LSCA) + (1*LSPA)(*MT0I+PAD) = 8448
v_mfma_f32_16x16x16_bf16 a[212+0:215+0], v[vgprValuB_X1_I0+26+0+0:vgprValuB_X1_I0+26+0+0+1], v[vgprValuA_X1_I0+2+0+0:vgprValuA_X1_I0+2+0+0+1], a[212:215]
/*  mfmaIndex:111  */
v_mfma_f32_16x16x16_bf16 a[208+0:211+0], v[vgprValuB_X1_I0+26+0+0:vgprValuB_X1_I0+26+0+0+1], v[vgprValuA_X1_I0+0+0+0:vgprValuA_X1_I0+0+0+0+1], a[208:211]
/* numPrefetchIter=0 */
/* dataAtIterA=0 numReadsIterA=2 skipReadsIterA=1 readsPerIterA=16 */
/* dataAtIterB=0 numReadsIterB=2 skipReadsIterB=1 readsPerIterB=14 */


/* iter 2 (reset local read pointers iteration)  (swap local read pointers iteration)  */

/*  grEndMfmaIndex:18, lwStartMfmaIndex:98, lwEndMfmaIndex:183  */
/*  numMfmaForLR:35, barrierMfmaIndex:188, LocalWritePerMfma:0.250 */
/*  mfmaIndex:112  */
/* pack scheduling: packAIdx:2, packBIdx:0 */
v_or_b32 v[vgprValuA_X2_I0+0], v[vgprValuA_X2_I0+0], v[vgprValuA_X2_I0_D1+0] // pack two half Vgpr to one Vgpr
v_or_b32 v[vgprValuA_X2_I0+1], v[vgprValuA_X2_I0+1], v[vgprValuA_X2_I0_D1+1] // pack two half Vgpr to one Vgpr
	;; [unrolled: 1-line block ×4, first 2 shown]
v_mfma_f32_16x16x16_bf16 a[0+0:3+0], v[vgprValuB_X2_I0+0+0+0:vgprValuB_X2_I0+0+0+0+1], v[vgprValuA_X2_I0+0+0+0:vgprValuA_X2_I0+0+0+0+1], a[0:3]
/*  mfmaIndex:113  */
/* pack scheduling: packAIdx:4, packBIdx:0 */
v_or_b32 v[vgprValuA_X2_I0+4], v[vgprValuA_X2_I0+4], v[vgprValuA_X2_I0_D1+4] // pack two half Vgpr to one Vgpr
v_or_b32 v[vgprValuA_X2_I0+5], v[vgprValuA_X2_I0+5], v[vgprValuA_X2_I0_D1+5] // pack two half Vgpr to one Vgpr
v_mfma_f32_16x16x16_bf16 a[4+0:7+0], v[vgprValuB_X2_I0+0+0+0:vgprValuB_X2_I0+0+0+0+1], v[vgprValuA_X2_I0+2+0+0:vgprValuA_X2_I0+2+0+0+1], a[4:7]
/*  mfmaIndex:114  */
/* sched write - iter 2 writesPerItem=1 */
s_waitcnt vmcnt(0)                                 // lgkmcnt=-1 vmcnt=0wait for global read before writing to local
_ds_store_b128 v[vgprLocalWriteAddrA], v[vgprG2LA+16:vgprG2LA+16+3] offset:16384 // lwoA_0_0_2_0 = (0*LSCA) + (2*LSPA)(*MT0I+PAD) = 16384
/* pack scheduling: packAIdx:6, packBIdx:0 */
v_or_b32 v[vgprValuA_X2_I0+6], v[vgprValuA_X2_I0+6], v[vgprValuA_X2_I0_D1+6] // pack two half Vgpr to one Vgpr
v_or_b32 v[vgprValuA_X2_I0+7], v[vgprValuA_X2_I0+7], v[vgprValuA_X2_I0_D1+7] // pack two half Vgpr to one Vgpr
v_mfma_f32_16x16x16_bf16 a[8+0:11+0], v[vgprValuB_X2_I0+0+0+0:vgprValuB_X2_I0+0+0+0+1], v[vgprValuA_X2_I0+4+0+0:vgprValuA_X2_I0+4+0+0+1], a[8:11]
/*  mfmaIndex:115  */
v_mfma_f32_16x16x16_bf16 a[12+0:15+0], v[vgprValuB_X2_I0+0+0+0:vgprValuB_X2_I0+0+0+0+1], v[vgprValuA_X2_I0+6+0+0:vgprValuA_X2_I0+6+0+0+1], a[12:15]
/*  mfmaIndex:116  */
	;; [unrolled: 2-line block ×4, first 2 shown]
/* sched write - iter 2 writesPerItem=1 */
s_waitcnt vmcnt(0)                                 // lgkmcnt=-1 vmcnt=0wait for global read before writing to local
_ds_store_b128 v[vgprLocalWriteAddrA], v[vgprG2LA+20:vgprG2LA+20+3] offset:16640 // lwoA_1_0_2_0 = (1*LSCA) + (2*LSPA)(*MT0I+PAD) = 16640
v_mfma_f32_16x16x16_bf16 a[20+0:23+0], v[vgprValuB_X2_I0+2+0+0:vgprValuB_X2_I0+2+0+0+1], v[vgprValuA_X2_I0+2+0+0:vgprValuA_X2_I0+2+0+0+1], a[20:23]
/*  mfmaIndex:119  */
v_mfma_f32_16x16x16_bf16 a[16+0:19+0], v[vgprValuB_X2_I0+2+0+0:vgprValuB_X2_I0+2+0+0+1], v[vgprValuA_X2_I0+0+0+0:vgprValuA_X2_I0+0+0+0+1], a[16:19]
/*  mfmaIndex:120  */
	;; [unrolled: 2-line block ×4, first 2 shown]
/* sched write - iter 2 writesPerItem=1 */
s_waitcnt vmcnt(0)                                 // lgkmcnt=-1 vmcnt=0wait for global read before writing to local
_ds_store_b128 v[vgprLocalWriteAddrA], v[vgprG2LA+24:vgprG2LA+24+3] offset:24576 // lwoA_0_0_3_0 = (0*LSCA) + (3*LSPA)(*MT0I+PAD) = 24576
v_mfma_f32_16x16x16_bf16 a[40+0:43+0], v[vgprValuB_X2_I0+4+0+0:vgprValuB_X2_I0+4+0+0+1], v[vgprValuA_X2_I0+4+0+0:vgprValuA_X2_I0+4+0+0+1], a[40:43]
/*  mfmaIndex:123  */
v_mfma_f32_16x16x16_bf16 a[44+0:47+0], v[vgprValuB_X2_I0+4+0+0:vgprValuB_X2_I0+4+0+0+1], v[vgprValuA_X2_I0+6+0+0:vgprValuA_X2_I0+6+0+0+1], a[44:47]
/*  mfmaIndex:124  */
	;; [unrolled: 2-line block ×4, first 2 shown]
/* sched write - iter 2 writesPerItem=1 */
s_waitcnt vmcnt(0)                                 // lgkmcnt=-1 vmcnt=0wait for global read before writing to local
_ds_store_b128 v[vgprLocalWriteAddrA], v[vgprG2LA+28:vgprG2LA+28+3] offset:24832 // lwoA_1_0_3_0 = (1*LSCA) + (3*LSPA)(*MT0I+PAD) = 24832
v_mfma_f32_16x16x16_bf16 a[52+0:55+0], v[vgprValuB_X2_I0+6+0+0:vgprValuB_X2_I0+6+0+0+1], v[vgprValuA_X2_I0+2+0+0:vgprValuA_X2_I0+2+0+0+1], a[52:55]
/*  mfmaIndex:127  */
v_mfma_f32_16x16x16_bf16 a[48+0:51+0], v[vgprValuB_X2_I0+6+0+0:vgprValuB_X2_I0+6+0+0+1], v[vgprValuA_X2_I0+0+0+0:vgprValuA_X2_I0+0+0+0+1], a[48:51]
/*  mfmaIndex:128  */
	;; [unrolled: 2-line block ×4, first 2 shown]
/* sched write - iter 2 writesPerItem=1 */
s_waitcnt vmcnt(0)                                 // lgkmcnt=-1 vmcnt=0wait for global read before writing to local
_ds_store_b64 v[vgprLocalWriteAddrB], v[vgprG2LB+0:vgprG2LB+0+1] offset:0 // lwoB_0_0_0_0 = (0*LSCB)*(MT1J+PAD) + (0*LSPB) = 0
v_mfma_f32_16x16x16_bf16 a[72+0:75+0], v[vgprValuB_X2_I0+8+0+0:vgprValuB_X2_I0+8+0+0+1], v[vgprValuA_X2_I0+4+0+0:vgprValuA_X2_I0+4+0+0+1], a[72:75]
/*  mfmaIndex:131  */
v_mfma_f32_16x16x16_bf16 a[76+0:79+0], v[vgprValuB_X2_I0+8+0+0:vgprValuB_X2_I0+8+0+0+1], v[vgprValuA_X2_I0+6+0+0:vgprValuA_X2_I0+6+0+0+1], a[76:79]
/*  mfmaIndex:132  */
	;; [unrolled: 2-line block ×4, first 2 shown]
/* sched write - iter 2 writesPerItem=1 */
s_waitcnt vmcnt(0)                                 // lgkmcnt=-1 vmcnt=0wait for global read before writing to local
_ds_store_b64 v[vgprLocalWriteAddrB], v[vgprG2LB+2:vgprG2LB+2+1] offset:2176 // lwoB_0_0_1_0 = (0*LSCB)*(MT1J+PAD) + (1*LSPB) = 2176
v_mfma_f32_16x16x16_bf16 a[84+0:87+0], v[vgprValuB_X2_I0+10+0+0:vgprValuB_X2_I0+10+0+0+1], v[vgprValuA_X2_I0+2+0+0:vgprValuA_X2_I0+2+0+0+1], a[84:87]
/*  mfmaIndex:135  */
v_mfma_f32_16x16x16_bf16 a[80+0:83+0], v[vgprValuB_X2_I0+10+0+0:vgprValuB_X2_I0+10+0+0+1], v[vgprValuA_X2_I0+0+0+0:vgprValuA_X2_I0+0+0+0+1], a[80:83]
/*  mfmaIndex:136  */
	;; [unrolled: 2-line block ×4, first 2 shown]
/* sched write - iter 2 writesPerItem=1 */
s_waitcnt vmcnt(0)                                 // lgkmcnt=-1 vmcnt=0wait for global read before writing to local
_ds_store_b64 v[vgprLocalWriteAddrB], v[vgprG2LB+4:vgprG2LB+4+1] offset:4352 // lwoB_0_0_2_0 = (0*LSCB)*(MT1J+PAD) + (2*LSPB) = 4352
v_mfma_f32_16x16x16_bf16 a[104+0:107+0], v[vgprValuB_X2_I0+12+0+0:vgprValuB_X2_I0+12+0+0+1], v[vgprValuA_X2_I0+4+0+0:vgprValuA_X2_I0+4+0+0+1], a[104:107]
/*  mfmaIndex:139  */
v_mfma_f32_16x16x16_bf16 a[108+0:111+0], v[vgprValuB_X2_I0+12+0+0:vgprValuB_X2_I0+12+0+0+1], v[vgprValuA_X2_I0+6+0+0:vgprValuA_X2_I0+6+0+0+1], a[108:111]
/*  mfmaIndex:140  */
	;; [unrolled: 2-line block ×4, first 2 shown]
/* sched write - iter 2 writesPerItem=1 */
s_waitcnt vmcnt(0)                                 // lgkmcnt=-1 vmcnt=0wait for global read before writing to local
_ds_store_b64 v[vgprLocalWriteAddrB], v[vgprG2LB+6:vgprG2LB+6+1] offset:6528 // lwoB_0_0_3_0 = (0*LSCB)*(MT1J+PAD) + (3*LSPB) = 6528
v_mfma_f32_16x16x16_bf16 a[116+0:119+0], v[vgprValuB_X2_I0+14+0+0:vgprValuB_X2_I0+14+0+0+1], v[vgprValuA_X2_I0+2+0+0:vgprValuA_X2_I0+2+0+0+1], a[116:119]
/*  mfmaIndex:143  */
v_mfma_f32_16x16x16_bf16 a[112+0:115+0], v[vgprValuB_X2_I0+14+0+0:vgprValuB_X2_I0+14+0+0+1], v[vgprValuA_X2_I0+0+0+0:vgprValuA_X2_I0+0+0+0+1], a[112:115]
/*  mfmaIndex:144  */
	;; [unrolled: 2-line block ×4, first 2 shown]
/* sched write - iter 2 writesPerItem=1 */
s_waitcnt vmcnt(0)                                 // lgkmcnt=-1 vmcnt=0wait for global read before writing to local
_ds_store_b64 v[vgprLocalWriteAddrB], v[vgprG2LB+8:vgprG2LB+8+1] offset:8704 // lwoB_0_0_4_0 = (0*LSCB)*(MT1J+PAD) + (4*LSPB) = 8704
v_mfma_f32_16x16x16_bf16 a[136+0:139+0], v[vgprValuB_X2_I0+16+0+0:vgprValuB_X2_I0+16+0+0+1], v[vgprValuA_X2_I0+4+0+0:vgprValuA_X2_I0+4+0+0+1], a[136:139]
/*  mfmaIndex:147  */
v_mfma_f32_16x16x16_bf16 a[140+0:143+0], v[vgprValuB_X2_I0+16+0+0:vgprValuB_X2_I0+16+0+0+1], v[vgprValuA_X2_I0+6+0+0:vgprValuA_X2_I0+6+0+0+1], a[140:143]
/*  mfmaIndex:148  */
	;; [unrolled: 2-line block ×4, first 2 shown]
/* sched write - iter 2 writesPerItem=1 */
s_waitcnt vmcnt(0)                                 // lgkmcnt=-1 vmcnt=0wait for global read before writing to local
_ds_store_b64 v[vgprLocalWriteAddrB], v[vgprG2LB+10:vgprG2LB+10+1] offset:10880 // lwoB_0_0_5_0 = (0*LSCB)*(MT1J+PAD) + (5*LSPB) = 10880
v_mfma_f32_16x16x16_bf16 a[148+0:151+0], v[vgprValuB_X2_I0+18+0+0:vgprValuB_X2_I0+18+0+0+1], v[vgprValuA_X2_I0+2+0+0:vgprValuA_X2_I0+2+0+0+1], a[148:151]
/*  mfmaIndex:151  */
v_mfma_f32_16x16x16_bf16 a[144+0:147+0], v[vgprValuB_X2_I0+18+0+0:vgprValuB_X2_I0+18+0+0+1], v[vgprValuA_X2_I0+0+0+0:vgprValuA_X2_I0+0+0+0+1], a[144:147]
/*  mfmaIndex:152  */
	;; [unrolled: 2-line block ×4, first 2 shown]
/* sched write - iter 2 writesPerItem=1 */
s_waitcnt vmcnt(0)                                 // lgkmcnt=-1 vmcnt=0wait for global read before writing to local
_ds_store_b64 v[vgprLocalWriteAddrB], v[vgprG2LB+12:vgprG2LB+12+1] offset:13056 // lwoB_0_0_6_0 = (0*LSCB)*(MT1J+PAD) + (6*LSPB) = 13056
v_mfma_f32_16x16x16_bf16 a[168+0:171+0], v[vgprValuB_X2_I0+20+0+0:vgprValuB_X2_I0+20+0+0+1], v[vgprValuA_X2_I0+4+0+0:vgprValuA_X2_I0+4+0+0+1], a[168:171]
/*  mfmaIndex:155  */
v_mfma_f32_16x16x16_bf16 a[172+0:175+0], v[vgprValuB_X2_I0+20+0+0:vgprValuB_X2_I0+20+0+0+1], v[vgprValuA_X2_I0+6+0+0:vgprValuA_X2_I0+6+0+0+1], a[172:175]
/*  mfmaIndex:156  */
	;; [unrolled: 2-line block ×4, first 2 shown]
/* sched write - iter 2 writesPerItem=1 */
s_waitcnt vmcnt(0)                                 // lgkmcnt=-1 vmcnt=0wait for global read before writing to local
_ds_store_b64 v[vgprLocalWriteAddrB], v[vgprG2LB+14:vgprG2LB+14+1] offset:15232 // lwoB_0_0_7_0 = (0*LSCB)*(MT1J+PAD) + (7*LSPB) = 15232
v_mfma_f32_16x16x16_bf16 a[180+0:183+0], v[vgprValuB_X2_I0+22+0+0:vgprValuB_X2_I0+22+0+0+1], v[vgprValuA_X2_I0+2+0+0:vgprValuA_X2_I0+2+0+0+1], a[180:183]
/*  mfmaIndex:159  */
v_mfma_f32_16x16x16_bf16 a[176+0:179+0], v[vgprValuB_X2_I0+22+0+0:vgprValuB_X2_I0+22+0+0+1], v[vgprValuA_X2_I0+0+0+0:vgprValuA_X2_I0+0+0+0+1], a[176:179]
/*  mfmaIndex:160  */
	;; [unrolled: 2-line block ×4, first 2 shown]
/* sched write - iter 2 writesPerItem=1 */
s_waitcnt vmcnt(0)                                 // lgkmcnt=-1 vmcnt=0wait for global read before writing to local
_ds_store_b64 v[vgprLocalWriteAddrB], v[vgprG2LB+16:vgprG2LB+16+1] offset:17408 // lwoB_0_0_8_0 = (0*LSCB)*(MT1J+PAD) + (8*LSPB) = 17408
v_mfma_f32_16x16x16_bf16 a[200+0:203+0], v[vgprValuB_X2_I0+24+0+0:vgprValuB_X2_I0+24+0+0+1], v[vgprValuA_X2_I0+4+0+0:vgprValuA_X2_I0+4+0+0+1], a[200:203]
/*  mfmaIndex:163  */
v_mfma_f32_16x16x16_bf16 a[204+0:207+0], v[vgprValuB_X2_I0+24+0+0:vgprValuB_X2_I0+24+0+0+1], v[vgprValuA_X2_I0+6+0+0:vgprValuA_X2_I0+6+0+0+1], a[204:207]
/*  mfmaIndex:164  */
v_mfma_f32_16x16x16_bf16 a[220+0:223+0], v[vgprValuB_X2_I0+26+0+0:vgprValuB_X2_I0+26+0+0+1], v[vgprValuA_X2_I0+6+0+0:vgprValuA_X2_I0+6+0+0+1], a[220:223]
/*  mfmaIndex:165  */
v_mfma_f32_16x16x16_bf16 a[216+0:219+0], v[vgprValuB_X2_I0+26+0+0:vgprValuB_X2_I0+26+0+0+1], v[vgprValuA_X2_I0+4+0+0:vgprValuA_X2_I0+4+0+0+1], a[216:219]
/*  mfmaIndex:166  */
/* sched write - iter 2 writesPerItem=1 */
s_waitcnt vmcnt(0)                                 // lgkmcnt=-1 vmcnt=0wait for global read before writing to local
_ds_store_b64 v[vgprLocalWriteAddrB], v[vgprG2LB+18:vgprG2LB+18+1] offset:19584 // lwoB_0_0_9_0 = (0*LSCB)*(MT1J+PAD) + (9*LSPB) = 19584
v_mfma_f32_16x16x16_bf16 a[212+0:215+0], v[vgprValuB_X2_I0+26+0+0:vgprValuB_X2_I0+26+0+0+1], v[vgprValuA_X2_I0+2+0+0:vgprValuA_X2_I0+2+0+0+1], a[212:215]
/*  mfmaIndex:167  */

/* local read swap offsets a */

/* local read swap offsets b */

/* local read init pointers a */

/* localReadInitPointers */

/* local read init pointers b */

/* localReadInitPointers */
v_mfma_f32_16x16x16_bf16 a[208+0:211+0], v[vgprValuB_X2_I0+26+0+0:vgprValuB_X2_I0+26+0+0+1], v[vgprValuA_X2_I0+0+0+0:vgprValuA_X2_I0+0+0+0+1], a[208:211]


/* iter 3 (swap and reset local write pointers iteration)  */

/*  grEndMfmaIndex:18, lwStartMfmaIndex:98, lwEndMfmaIndex:183  */
/*  numMfmaForLR:35, barrierMfmaIndex:188, LocalWritePerMfma:0.250 */
/*  mfmaIndex:168  */
/* pack scheduling: packAIdx:2, packBIdx:0 */
v_or_b32 v[vgprValuA_X3_I0+0], v[vgprValuA_X3_I0+0], v[vgprValuA_X3_I0_D1+0] // pack two half Vgpr to one Vgpr
v_or_b32 v[vgprValuA_X3_I0+1], v[vgprValuA_X3_I0+1], v[vgprValuA_X3_I0_D1+1] // pack two half Vgpr to one Vgpr
	;; [unrolled: 1-line block ×4, first 2 shown]
v_mfma_f32_16x16x16_bf16 a[0+0:3+0], v[vgprValuB_X3_I0+0+0+0:vgprValuB_X3_I0+0+0+0+1], v[vgprValuA_X3_I0+0+0+0:vgprValuA_X3_I0+0+0+0+1], a[0:3]
/*  mfmaIndex:169  */
/* pack scheduling: packAIdx:4, packBIdx:0 */
v_or_b32 v[vgprValuA_X3_I0+4], v[vgprValuA_X3_I0+4], v[vgprValuA_X3_I0_D1+4] // pack two half Vgpr to one Vgpr
v_or_b32 v[vgprValuA_X3_I0+5], v[vgprValuA_X3_I0+5], v[vgprValuA_X3_I0_D1+5] // pack two half Vgpr to one Vgpr
v_mfma_f32_16x16x16_bf16 a[4+0:7+0], v[vgprValuB_X3_I0+0+0+0:vgprValuB_X3_I0+0+0+0+1], v[vgprValuA_X3_I0+2+0+0:vgprValuA_X3_I0+2+0+0+1], a[4:7]
/*  mfmaIndex:170  */
/* sched write - iter 3 writesPerItem=1 */
s_waitcnt vmcnt(0)                                 // lgkmcnt=-1 vmcnt=0wait for global read before writing to local
_ds_store_b64 v[vgprLocalWriteAddrB], v[vgprG2LB+20:vgprG2LB+20+1] offset:21760 // lwoB_0_0_10_0 = (0*LSCB)*(MT1J+PAD) + (10*LSPB) = 21760
/* pack scheduling: packAIdx:6, packBIdx:0 */
v_or_b32 v[vgprValuA_X3_I0+6], v[vgprValuA_X3_I0+6], v[vgprValuA_X3_I0_D1+6] // pack two half Vgpr to one Vgpr
v_or_b32 v[vgprValuA_X3_I0+7], v[vgprValuA_X3_I0+7], v[vgprValuA_X3_I0_D1+7] // pack two half Vgpr to one Vgpr
v_mfma_f32_16x16x16_bf16 a[8+0:11+0], v[vgprValuB_X3_I0+0+0+0:vgprValuB_X3_I0+0+0+0+1], v[vgprValuA_X3_I0+4+0+0:vgprValuA_X3_I0+4+0+0+1], a[8:11]
/*  mfmaIndex:171  */
v_mfma_f32_16x16x16_bf16 a[12+0:15+0], v[vgprValuB_X3_I0+0+0+0:vgprValuB_X3_I0+0+0+0+1], v[vgprValuA_X3_I0+6+0+0:vgprValuA_X3_I0+6+0+0+1], a[12:15]
/*  mfmaIndex:172  */
	;; [unrolled: 2-line block ×4, first 2 shown]
/* sched write - iter 3 writesPerItem=1 */
s_waitcnt vmcnt(0)                                 // lgkmcnt=-1 vmcnt=0wait for global read before writing to local
_ds_store_b64 v[vgprLocalWriteAddrB], v[vgprG2LB+22:vgprG2LB+22+1] offset:23936 // lwoB_0_0_11_0 = (0*LSCB)*(MT1J+PAD) + (11*LSPB) = 23936
v_mfma_f32_16x16x16_bf16 a[20+0:23+0], v[vgprValuB_X3_I0+2+0+0:vgprValuB_X3_I0+2+0+0+1], v[vgprValuA_X3_I0+2+0+0:vgprValuA_X3_I0+2+0+0+1], a[20:23]
/*  mfmaIndex:175  */
v_mfma_f32_16x16x16_bf16 a[16+0:19+0], v[vgprValuB_X3_I0+2+0+0:vgprValuB_X3_I0+2+0+0+1], v[vgprValuA_X3_I0+0+0+0:vgprValuA_X3_I0+0+0+0+1], a[16:19]
/*  mfmaIndex:176  */
	;; [unrolled: 2-line block ×4, first 2 shown]
/* sched write - iter 3 writesPerItem=1 */
s_waitcnt vmcnt(0)                                 // lgkmcnt=-1 vmcnt=0wait for global read before writing to local
_ds_store_b64 v[vgprLocalWriteAddrB], v[vgprG2LB+24:vgprG2LB+24+1] offset:26112 // lwoB_0_0_12_0 = (0*LSCB)*(MT1J+PAD) + (12*LSPB) = 26112
v_mfma_f32_16x16x16_bf16 a[40+0:43+0], v[vgprValuB_X3_I0+4+0+0:vgprValuB_X3_I0+4+0+0+1], v[vgprValuA_X3_I0+4+0+0:vgprValuA_X3_I0+4+0+0+1], a[40:43]
/*  mfmaIndex:179  */
v_mfma_f32_16x16x16_bf16 a[44+0:47+0], v[vgprValuB_X3_I0+4+0+0:vgprValuB_X3_I0+4+0+0+1], v[vgprValuA_X3_I0+6+0+0:vgprValuA_X3_I0+6+0+0+1], a[44:47]
/*  mfmaIndex:180  */
	;; [unrolled: 2-line block ×4, first 2 shown]
/* sched write - iter 3 writesPerItem=1 */
s_waitcnt vmcnt(0)                                 // lgkmcnt=-1 vmcnt=0wait for global read before writing to local
_ds_store_b64 v[vgprLocalWriteAddrB], v[vgprG2LB+26:vgprG2LB+26+1] offset:28288 // lwoB_0_0_13_0 = (0*LSCB)*(MT1J+PAD) + (13*LSPB) = 28288
v_mfma_f32_16x16x16_bf16 a[52+0:55+0], v[vgprValuB_X3_I0+6+0+0:vgprValuB_X3_I0+6+0+0+1], v[vgprValuA_X3_I0+2+0+0:vgprValuA_X3_I0+2+0+0+1], a[52:55]
/*  mfmaIndex:183  */

/* local write swap offsets a */

/* local write swap offsets b */
v_mfma_f32_16x16x16_bf16 a[48+0:51+0], v[vgprValuB_X3_I0+6+0+0:vgprValuB_X3_I0+6+0+0+1], v[vgprValuA_X3_I0+0+0+0:vgprValuA_X3_I0+0+0+0+1], a[48:51]
/*  mfmaIndex:184  */
v_mfma_f32_16x16x16_bf16 a[64+0:67+0], v[vgprValuB_X3_I0+8+0+0:vgprValuB_X3_I0+8+0+0+1], v[vgprValuA_X3_I0+0+0+0:vgprValuA_X3_I0+0+0+0+1], a[64:67]
/*  mfmaIndex:185  */
	;; [unrolled: 2-line block ×4, first 2 shown]
v_mfma_f32_16x16x16_bf16 a[76+0:79+0], v[vgprValuB_X3_I0+8+0+0:vgprValuB_X3_I0+8+0+0+1], v[vgprValuA_X3_I0+6+0+0:vgprValuA_X3_I0+6+0+0+1], a[76:79]
s_setprio 0                                        // store optimization
/*  mfmaIndex:188  */
s_waitcnt lgkmcnt(0)                               // lgkmcnt=0 vmcnt=-13wait for local write
// Skip force waitcnt0
s_barrier //
v_mfma_f32_16x16x16_bf16 a[92+0:95+0], v[vgprValuB_X3_I0+10+0+0:vgprValuB_X3_I0+10+0+0+1], v[vgprValuA_X3_I0+6+0+0:vgprValuA_X3_I0+6+0+0+1], a[92:95]
/*  mfmaIndex:189  */
s_setprio 3                                        // store optimization
_ds_load_u16 v[vgprValuA_X0_I0+0], v[vgprLocalReadAddrA] offset:0 // L -> Reg lro=0 swapByteOffset=0 ti=256 vIdx=0 rIdx=0 oIdx=0 buffer=0 iui=0
v_mfma_f32_16x16x16_bf16 a[88+0:91+0], v[vgprValuB_X3_I0+10+0+0:vgprValuB_X3_I0+10+0+0+1], v[vgprValuA_X3_I0+4+0+0:vgprValuA_X3_I0+4+0+0+1], a[88:91]
/*  mfmaIndex:190  */
_ds_load_u16_d16_hi v[vgprValuA_X0_I0_D1+0], v[vgprLocalReadAddrA] offset:512 // L -> Reg lro=0 swapByteOffset=0 ti=256 vIdx=0 rIdx=1 oIdx=0 buffer=0 iui=0
v_mfma_f32_16x16x16_bf16 a[84+0:87+0], v[vgprValuB_X3_I0+10+0+0:vgprValuB_X3_I0+10+0+0+1], v[vgprValuA_X3_I0+2+0+0:vgprValuA_X3_I0+2+0+0+1], a[84:87]
/*  mfmaIndex:191  */
_ds_load_u16 v[vgprValuA_X0_I0+1], v[vgprLocalReadAddrA] offset:1024 // L -> Reg lro=0 swapByteOffset=0 ti=256 vIdx=0 rIdx=2 oIdx=0 buffer=0 iui=0
v_mfma_f32_16x16x16_bf16 a[80+0:83+0], v[vgprValuB_X3_I0+10+0+0:vgprValuB_X3_I0+10+0+0+1], v[vgprValuA_X3_I0+0+0+0:vgprValuA_X3_I0+0+0+0+1], a[80:83]
/*  mfmaIndex:192  */
_ds_load_u16_d16_hi v[vgprValuA_X0_I0_D1+1], v[vgprLocalReadAddrA] offset:1536 // L -> Reg lro=0 swapByteOffset=0 ti=256 vIdx=0 rIdx=3 oIdx=0 buffer=0 iui=0
v_mfma_f32_16x16x16_bf16 a[96+0:99+0], v[vgprValuB_X3_I0+12+0+0:vgprValuB_X3_I0+12+0+0+1], v[vgprValuA_X3_I0+0+0+0:vgprValuA_X3_I0+0+0+0+1], a[96:99]
/*  mfmaIndex:193  */
_ds_load_b64 v[vgprValuB_X0_I0+0:vgprValuB_X0_I0+0+1], v[vgprLocalReadAddrB] offset:0 // L -> Reg lro=0 swapByteOffset=0 ti=16 vIdx=0 rIdx=0 oIdx=0 buffer=0 iui=0
v_mfma_f32_16x16x16_bf16 a[100+0:103+0], v[vgprValuB_X3_I0+12+0+0:vgprValuB_X3_I0+12+0+0+1], v[vgprValuA_X3_I0+2+0+0:vgprValuA_X3_I0+2+0+0+1], a[100:103]
/*  mfmaIndex:194  */
_ds_load_u16 v[vgprValuA_X0_I0+2], v[vgprLocalReadAddrA] offset:2 // L -> Reg lro=0 swapByteOffset=0 ti=256 vIdx=0 rIdx=0 oIdx=0 buffer=0 iui=0
v_mfma_f32_16x16x16_bf16 a[104+0:107+0], v[vgprValuB_X3_I0+12+0+0:vgprValuB_X3_I0+12+0+0+1], v[vgprValuA_X3_I0+4+0+0:vgprValuA_X3_I0+4+0+0+1], a[104:107]
/*  mfmaIndex:195  */
_ds_load_u16_d16_hi v[vgprValuA_X0_I0_D1+2], v[vgprLocalReadAddrA] offset:514 // L -> Reg lro=0 swapByteOffset=0 ti=256 vIdx=0 rIdx=1 oIdx=0 buffer=0 iui=0
v_mfma_f32_16x16x16_bf16 a[108+0:111+0], v[vgprValuB_X3_I0+12+0+0:vgprValuB_X3_I0+12+0+0+1], v[vgprValuA_X3_I0+6+0+0:vgprValuA_X3_I0+6+0+0+1], a[108:111]
/*  mfmaIndex:196  */
_ds_load_u16 v[vgprValuA_X0_I0+3], v[vgprLocalReadAddrA] offset:1026 // L -> Reg lro=0 swapByteOffset=0 ti=256 vIdx=0 rIdx=2 oIdx=0 buffer=0 iui=0
v_mfma_f32_16x16x16_bf16 a[124+0:127+0], v[vgprValuB_X3_I0+14+0+0:vgprValuB_X3_I0+14+0+0+1], v[vgprValuA_X3_I0+6+0+0:vgprValuA_X3_I0+6+0+0+1], a[124:127]
/*  mfmaIndex:197  */
_ds_load_u16_d16_hi v[vgprValuA_X0_I0_D1+3], v[vgprLocalReadAddrA] offset:1538 // L -> Reg lro=0 swapByteOffset=0 ti=256 vIdx=0 rIdx=3 oIdx=0 buffer=0 iui=0
	;; [unrolled: 6-line block ×6, first 2 shown]
v_mfma_f32_16x16x16_bf16 a[152+0:155+0], v[vgprValuB_X3_I0+18+0+0:vgprValuB_X3_I0+18+0+0+1], v[vgprValuA_X3_I0+4+0+0:vgprValuA_X3_I0+4+0+0+1], a[152:155]
/*  mfmaIndex:206  */
_ds_load_b64 v[vgprValuB_X0_I0+2:vgprValuB_X0_I0+2+1], v[vgprLocalReadAddrB] offset:2176 // L -> Reg lro=0 swapByteOffset=0 ti=16 vIdx=1 rIdx=0 oIdx=0 buffer=0 iui=0
v_mfma_f32_16x16x16_bf16 a[148+0:151+0], v[vgprValuB_X3_I0+18+0+0:vgprValuB_X3_I0+18+0+0+1], v[vgprValuA_X3_I0+2+0+0:vgprValuA_X3_I0+2+0+0+1], a[148:151]
/*  mfmaIndex:207  */
_ds_load_b64 v[vgprValuB_X0_I0+4:vgprValuB_X0_I0+4+1], v[vgprLocalReadAddrB] offset:4352 // L -> Reg lro=0 swapByteOffset=0 ti=16 vIdx=2 rIdx=0 oIdx=0 buffer=0 iui=0
	;; [unrolled: 3-line block ×13, first 2 shown]
v_mfma_f32_16x16x16_bf16 a[200+0:203+0], v[vgprValuB_X3_I0+24+0+0:vgprValuB_X3_I0+24+0+0+1], v[vgprValuA_X3_I0+4+0+0:vgprValuA_X3_I0+4+0+0+1], a[200:203]
/*  mfmaIndex:219  */
v_mfma_f32_16x16x16_bf16 a[204+0:207+0], v[vgprValuB_X3_I0+24+0+0:vgprValuB_X3_I0+24+0+0+1], v[vgprValuA_X3_I0+6+0+0:vgprValuA_X3_I0+6+0+0+1], a[204:207]
/*  mfmaIndex:220  */
	;; [unrolled: 2-line block ×5, first 2 shown]
v_mfma_f32_16x16x16_bf16 a[208+0:211+0], v[vgprValuB_X3_I0+26+0+0:vgprValuB_X3_I0+26+0+0+1], v[vgprValuA_X3_I0+0+0+0:vgprValuA_X3_I0+0+0+0+1], a[208:211]
s_setprio 0                                        // store optimization

label_0014:


/******************************************/
/* Opt. NoLoadLoop Without PAP - Begin                                      */
/******************************************/

s_cmpk_eq_u32 s[sgprBeta], 0x0                     // Beta == 0
s_cbranch_scc0 OptNLL_End_17                       // Branch if Beta is not zero

s_cmp_eq_u32 s[sgprAlpha], 1.0                     // Alpha == 1.0 ?
s_cbranch_scc0 OptNLL_End_17                       // branch if alpha != 1

s_and_b32 s76, 255, s[sgprSizeI]                   // s76 = s[sgprSizeI] % 256
s_add_u32 s77, -0x1, s[sgprNumWorkGroups0]         // 
s_cmp_ge_u32 s[sgprWorkGroup0], s77                // wg0 >= nwg0-1 ?
s_cselect_b32 s76, s76, 0                          // set rMT0
s_cmpk_gt_u32 s76, 0x0                             // rMT0 > 0
s_cbranch_scc1 OptNLL_End_17                       // jump if edges required
s_mov_b32 s79, 0x0                                 // STATIC_DIV: divisior=224
s_mul_i32 s78, 0x249, s[sgprSizeJ]                 // tmp1 = dividend * magic hi
s_lshl_b64 s[78:79], s[78:79], 0x10                // left shift 16 bits
s_mul_i32 s77, s[sgprSizeJ], 0x2493                // tmp0 = dividend * magic lo
s_add_u32 s78, s77, s78                            // add lo
s_addc_u32 s79, s79, 0x0                           // add hi
s_lshr_b64 s[78:79], s[78:79], 0x21                // tmp1 = (dividend * magic) << shift
s_mov_b32 s77, s78                                 // quotient
s_mul_i32 s78, s77, 0xe0                           // quotient*divisor
s_sub_u32 s76, s[sgprSizeJ], s78                   // rReg = dividend - quotient*divisor
s_add_u32 s77, -0x1, s[sgprNumWorkGroups1]         // 
s_cmp_ge_u32 s[sgprWorkGroup1], s77                // wg1 >= nwg1-1
s_cselect_b32 s76, s76, 0                          // set rMT1
s_cmpk_gt_u32 s76, 0x0                             // rMT1 > 0
s_cbranch_scc1 OptNLL_End_17                       // jump if edges required


	;; [unrolled: 1-line block ×4, first 2 shown]
/* iter 0 (last unrolled loop) */

/*  grEndMfmaIndex:0, lwStartMfmaIndex:183, lwEndMfmaIndex:183  */
/*  numMfmaForLR:35, barrierMfmaIndex:188, LocalWritePerMfma:0.250 */
/*  mfmaIndex:0  */
s_waitcnt lgkmcnt(0)                               // lgkmcnt=0 vmcnt=-1wait for prior local read local write old=0, new=0 newLW=0 newLR=0
/* pack scheduling: packAIdx:2, packBIdx:0 */
v_or_b32 v[vgprValuA_X0_I0+0], v[vgprValuA_X0_I0+0], v[vgprValuA_X0_I0_D1+0] // pack two half Vgpr to one Vgpr
v_or_b32 v[vgprValuA_X0_I0+1], v[vgprValuA_X0_I0+1], v[vgprValuA_X0_I0_D1+1] // pack two half Vgpr to one Vgpr
	;; [unrolled: 1-line block ×4, first 2 shown]
v_mfma_f32_16x16x16_bf16 a[0+0:3+0], v[vgprValuB_X0_I0+0+0+0:vgprValuB_X0_I0+0+0+0+1], v[vgprValuA_X0_I0+0+0+0:vgprValuA_X0_I0+0+0+0+1], a[0:3]
/*  mfmaIndex:1  */
_ds_load_u16 v[vgprValuA_X1_I0+0], v[vgprLocalReadAddrA] offset:8192 // L -> Reg lro=4096 swapByteOffset=0 ti=256 vIdx=0 rIdx=0 oIdx=0 buffer=1 iui=0
/* pack scheduling: packAIdx:4, packBIdx:0 */
v_or_b32 v[vgprValuA_X0_I0+4], v[vgprValuA_X0_I0+4], v[vgprValuA_X0_I0_D1+4] // pack two half Vgpr to one Vgpr
v_or_b32 v[vgprValuA_X0_I0+5], v[vgprValuA_X0_I0+5], v[vgprValuA_X0_I0_D1+5] // pack two half Vgpr to one Vgpr
v_mfma_f32_16x16x16_bf16 a[4+0:7+0], v[vgprValuB_X0_I0+0+0+0:vgprValuB_X0_I0+0+0+0+1], v[vgprValuA_X0_I0+2+0+0:vgprValuA_X0_I0+2+0+0+1], a[4:7]
/*  mfmaIndex:2  */
_ds_load_u16_d16_hi v[vgprValuA_X1_I0_D1+0], v[vgprLocalReadAddrA] offset:8704 // L -> Reg lro=4096 swapByteOffset=0 ti=256 vIdx=0 rIdx=1 oIdx=0 buffer=1 iui=0
/* pack scheduling: packAIdx:6, packBIdx:0 */
v_or_b32 v[vgprValuA_X0_I0+6], v[vgprValuA_X0_I0+6], v[vgprValuA_X0_I0_D1+6] // pack two half Vgpr to one Vgpr
v_or_b32 v[vgprValuA_X0_I0+7], v[vgprValuA_X0_I0+7], v[vgprValuA_X0_I0_D1+7] // pack two half Vgpr to one Vgpr
v_mfma_f32_16x16x16_bf16 a[8+0:11+0], v[vgprValuB_X0_I0+0+0+0:vgprValuB_X0_I0+0+0+0+1], v[vgprValuA_X0_I0+4+0+0:vgprValuA_X0_I0+4+0+0+1], a[8:11]
/*  mfmaIndex:3  */
_ds_load_u16 v[vgprValuA_X1_I0+1], v[vgprLocalReadAddrA] offset:9216 // L -> Reg lro=4096 swapByteOffset=0 ti=256 vIdx=0 rIdx=2 oIdx=0 buffer=1 iui=0
v_mfma_f32_16x16x16_bf16 a[12+0:15+0], v[vgprValuB_X0_I0+0+0+0:vgprValuB_X0_I0+0+0+0+1], v[vgprValuA_X0_I0+6+0+0:vgprValuA_X0_I0+6+0+0+1], a[12:15]
/*  mfmaIndex:4  */
_ds_load_u16_d16_hi v[vgprValuA_X1_I0_D1+1], v[vgprLocalReadAddrA] offset:9728 // L -> Reg lro=4096 swapByteOffset=0 ti=256 vIdx=0 rIdx=3 oIdx=0 buffer=1 iui=0
v_mfma_f32_16x16x16_bf16 a[28+0:31+0], v[vgprValuB_X0_I0+2+0+0:vgprValuB_X0_I0+2+0+0+1], v[vgprValuA_X0_I0+6+0+0:vgprValuA_X0_I0+6+0+0+1], a[28:31]
/*  mfmaIndex:5  */
_ds_load_b64 v[vgprValuB_X1_I0+0:vgprValuB_X1_I0+0+1], v[vgprLocalReadAddrB] offset:32 // L -> Reg lro=16 swapByteOffset=0 ti=16 vIdx=0 rIdx=0 oIdx=0 buffer=1 iui=0
v_mfma_f32_16x16x16_bf16 a[24+0:27+0], v[vgprValuB_X0_I0+2+0+0:vgprValuB_X0_I0+2+0+0+1], v[vgprValuA_X0_I0+4+0+0:vgprValuA_X0_I0+4+0+0+1], a[24:27]
/*  mfmaIndex:6  */
_ds_load_u16 v[vgprValuA_X1_I0+2], v[vgprLocalReadAddrA] offset:8194 // L -> Reg lro=4096 swapByteOffset=0 ti=256 vIdx=0 rIdx=0 oIdx=0 buffer=1 iui=0
v_mfma_f32_16x16x16_bf16 a[20+0:23+0], v[vgprValuB_X0_I0+2+0+0:vgprValuB_X0_I0+2+0+0+1], v[vgprValuA_X0_I0+2+0+0:vgprValuA_X0_I0+2+0+0+1], a[20:23]
/*  mfmaIndex:7  */
_ds_load_u16_d16_hi v[vgprValuA_X1_I0_D1+2], v[vgprLocalReadAddrA] offset:8706 // L -> Reg lro=4096 swapByteOffset=0 ti=256 vIdx=0 rIdx=1 oIdx=0 buffer=1 iui=0
v_mfma_f32_16x16x16_bf16 a[16+0:19+0], v[vgprValuB_X0_I0+2+0+0:vgprValuB_X0_I0+2+0+0+1], v[vgprValuA_X0_I0+0+0+0:vgprValuA_X0_I0+0+0+0+1], a[16:19]
/*  mfmaIndex:8  */
_ds_load_u16 v[vgprValuA_X1_I0+3], v[vgprLocalReadAddrA] offset:9218 // L -> Reg lro=4096 swapByteOffset=0 ti=256 vIdx=0 rIdx=2 oIdx=0 buffer=1 iui=0
v_mfma_f32_16x16x16_bf16 a[32+0:35+0], v[vgprValuB_X0_I0+4+0+0:vgprValuB_X0_I0+4+0+0+1], v[vgprValuA_X0_I0+0+0+0:vgprValuA_X0_I0+0+0+0+1], a[32:35]
/*  mfmaIndex:9  */
_ds_load_u16_d16_hi v[vgprValuA_X1_I0_D1+3], v[vgprLocalReadAddrA] offset:9730 // L -> Reg lro=4096 swapByteOffset=0 ti=256 vIdx=0 rIdx=3 oIdx=0 buffer=1 iui=0
	;; [unrolled: 6-line block ×6, first 2 shown]
v_mfma_f32_16x16x16_bf16 a[68+0:71+0], v[vgprValuB_X0_I0+8+0+0:vgprValuB_X0_I0+8+0+0+1], v[vgprValuA_X0_I0+2+0+0:vgprValuA_X0_I0+2+0+0+1], a[68:71]
/*  mfmaIndex:18  */
_ds_load_b64 v[vgprValuB_X1_I0+2:vgprValuB_X1_I0+2+1], v[vgprLocalReadAddrB] offset:2208 // L -> Reg lro=16 swapByteOffset=0 ti=16 vIdx=1 rIdx=0 oIdx=0 buffer=1 iui=0
v_mfma_f32_16x16x16_bf16 a[72+0:75+0], v[vgprValuB_X0_I0+8+0+0:vgprValuB_X0_I0+8+0+0+1], v[vgprValuA_X0_I0+4+0+0:vgprValuA_X0_I0+4+0+0+1], a[72:75]
/*  mfmaIndex:19  */
_ds_load_b64 v[vgprValuB_X1_I0+4:vgprValuB_X1_I0+4+1], v[vgprLocalReadAddrB] offset:4384 // L -> Reg lro=16 swapByteOffset=0 ti=16 vIdx=2 rIdx=0 oIdx=0 buffer=1 iui=0
	;; [unrolled: 3-line block ×13, first 2 shown]
v_mfma_f32_16x16x16_bf16 a[116+0:119+0], v[vgprValuB_X0_I0+14+0+0:vgprValuB_X0_I0+14+0+0+1], v[vgprValuA_X0_I0+2+0+0:vgprValuA_X0_I0+2+0+0+1], a[116:119]
/*  mfmaIndex:31  */
/* localReadsVacancy: latencyLeft 2 */
_ds_load_u16 v[vgprValuA_X2_I0+0], v[vgprLocalReadAddrA] offset:16384 // L -> Reg lro=8192 swapByteOffset=0 ti=256 vIdx=0 rIdx=0 oIdx=0 buffer=2 iui=0
v_mfma_f32_16x16x16_bf16 a[112+0:115+0], v[vgprValuB_X0_I0+14+0+0:vgprValuB_X0_I0+14+0+0+1], v[vgprValuA_X0_I0+0+0+0:vgprValuA_X0_I0+0+0+0+1], a[112:115]
/*  mfmaIndex:32  */
/* localReadsVacancy: latencyLeft 2 */
_ds_load_u16_d16_hi v[vgprValuA_X2_I0_D1+0], v[vgprLocalReadAddrA] offset:16896 // L -> Reg lro=8192 swapByteOffset=0 ti=256 vIdx=0 rIdx=1 oIdx=0 buffer=2 iui=0
v_mfma_f32_16x16x16_bf16 a[128+0:131+0], v[vgprValuB_X0_I0+16+0+0:vgprValuB_X0_I0+16+0+0+1], v[vgprValuA_X0_I0+0+0+0:vgprValuA_X0_I0+0+0+0+1], a[128:131]
/*  mfmaIndex:33  */
/* localReadsVacancy: latencyLeft 2 */
_ds_load_u16 v[vgprValuA_X2_I0+1], v[vgprLocalReadAddrA] offset:17408 // L -> Reg lro=8192 swapByteOffset=0 ti=256 vIdx=0 rIdx=2 oIdx=0 buffer=2 iui=0
v_mfma_f32_16x16x16_bf16 a[132+0:135+0], v[vgprValuB_X0_I0+16+0+0:vgprValuB_X0_I0+16+0+0+1], v[vgprValuA_X0_I0+2+0+0:vgprValuA_X0_I0+2+0+0+1], a[132:135]
/*  mfmaIndex:34  */
/* localReadsVacancy: latencyLeft 2 */
_ds_load_u16_d16_hi v[vgprValuA_X2_I0_D1+1], v[vgprLocalReadAddrA] offset:17920 // L -> Reg lro=8192 swapByteOffset=0 ti=256 vIdx=0 rIdx=3 oIdx=0 buffer=2 iui=0
v_mfma_f32_16x16x16_bf16 a[136+0:139+0], v[vgprValuB_X0_I0+16+0+0:vgprValuB_X0_I0+16+0+0+1], v[vgprValuA_X0_I0+4+0+0:vgprValuA_X0_I0+4+0+0+1], a[136:139]
/*  mfmaIndex:35  */
/* localReadsVacancy: latencyLeft 2 */
_ds_load_b64 v[vgprValuB_X2_I0+0:vgprValuB_X2_I0+0+1], v[vgprLocalReadAddrB] offset:64 // L -> Reg lro=32 swapByteOffset=0 ti=16 vIdx=0 rIdx=0 oIdx=0 buffer=2 iui=0
v_mfma_f32_16x16x16_bf16 a[140+0:143+0], v[vgprValuB_X0_I0+16+0+0:vgprValuB_X0_I0+16+0+0+1], v[vgprValuA_X0_I0+6+0+0:vgprValuA_X0_I0+6+0+0+1], a[140:143]
/*  mfmaIndex:36  */
/* localReadsVacancy: latencyLeft 2 */
_ds_load_u16 v[vgprValuA_X2_I0+2], v[vgprLocalReadAddrA] offset:16386 // L -> Reg lro=8192 swapByteOffset=0 ti=256 vIdx=0 rIdx=0 oIdx=0 buffer=2 iui=0
v_mfma_f32_16x16x16_bf16 a[156+0:159+0], v[vgprValuB_X0_I0+18+0+0:vgprValuB_X0_I0+18+0+0+1], v[vgprValuA_X0_I0+6+0+0:vgprValuA_X0_I0+6+0+0+1], a[156:159]
/*  mfmaIndex:37  */
/* localReadsVacancy: latencyLeft 2 */
_ds_load_u16_d16_hi v[vgprValuA_X2_I0_D1+2], v[vgprLocalReadAddrA] offset:16898 // L -> Reg lro=8192 swapByteOffset=0 ti=256 vIdx=0 rIdx=1 oIdx=0 buffer=2 iui=0
v_mfma_f32_16x16x16_bf16 a[152+0:155+0], v[vgprValuB_X0_I0+18+0+0:vgprValuB_X0_I0+18+0+0+1], v[vgprValuA_X0_I0+4+0+0:vgprValuA_X0_I0+4+0+0+1], a[152:155]
/*  mfmaIndex:38  */
/* localReadsVacancy: latencyLeft 2 */
_ds_load_u16 v[vgprValuA_X2_I0+3], v[vgprLocalReadAddrA] offset:17410 // L -> Reg lro=8192 swapByteOffset=0 ti=256 vIdx=0 rIdx=2 oIdx=0 buffer=2 iui=0
v_mfma_f32_16x16x16_bf16 a[148+0:151+0], v[vgprValuB_X0_I0+18+0+0:vgprValuB_X0_I0+18+0+0+1], v[vgprValuA_X0_I0+2+0+0:vgprValuA_X0_I0+2+0+0+1], a[148:151]
/*  mfmaIndex:39  */
/* localReadsVacancy: latencyLeft 2 */
_ds_load_u16_d16_hi v[vgprValuA_X2_I0_D1+3], v[vgprLocalReadAddrA] offset:17922 // L -> Reg lro=8192 swapByteOffset=0 ti=256 vIdx=0 rIdx=3 oIdx=0 buffer=2 iui=0
	;; [unrolled: 8-line block ×6, first 2 shown]
v_mfma_f32_16x16x16_bf16 a[176+0:179+0], v[vgprValuB_X0_I0+22+0+0:vgprValuB_X0_I0+22+0+0+1], v[vgprValuA_X0_I0+0+0+0:vgprValuA_X0_I0+0+0+0+1], a[176:179]
/*  mfmaIndex:48  */
/* localReadsVacancy: latencyLeft 2 */
_ds_load_b64 v[vgprValuB_X2_I0+2:vgprValuB_X2_I0+2+1], v[vgprLocalReadAddrB] offset:2240 // L -> Reg lro=32 swapByteOffset=0 ti=16 vIdx=1 rIdx=0 oIdx=0 buffer=2 iui=0
v_mfma_f32_16x16x16_bf16 a[192+0:195+0], v[vgprValuB_X0_I0+24+0+0:vgprValuB_X0_I0+24+0+0+1], v[vgprValuA_X0_I0+0+0+0:vgprValuA_X0_I0+0+0+0+1], a[192:195]
/*  mfmaIndex:49  */
/* localReadsVacancy: latencyLeft 2 */
_ds_load_b64 v[vgprValuB_X2_I0+4:vgprValuB_X2_I0+4+1], v[vgprLocalReadAddrB] offset:4416 // L -> Reg lro=32 swapByteOffset=0 ti=16 vIdx=2 rIdx=0 oIdx=0 buffer=2 iui=0
	;; [unrolled: 4-line block ×8, first 2 shown]
v_mfma_f32_16x16x16_bf16 a[208+0:211+0], v[vgprValuB_X0_I0+26+0+0:vgprValuB_X0_I0+26+0+0+1], v[vgprValuA_X0_I0+0+0+0:vgprValuA_X0_I0+0+0+0+1], a[208:211]
/* numPrefetchIter=0 */
/* dataAtIterA=-1 numReadsIterA=1 skipReadsIterA=1 readsPerIterA=16 */
/* dataAtIterB=-1 numReadsIterB=1 skipReadsIterB=1 readsPerIterB=14 */


/* iter 1 (last unrolled loop) */

/*  grEndMfmaIndex:0, lwStartMfmaIndex:183, lwEndMfmaIndex:183  */
/*  numMfmaForLR:35, barrierMfmaIndex:188, LocalWritePerMfma:0.250 */
/*  mfmaIndex:56  */
_ds_load_b64 v[vgprValuB_X2_I0+18:vgprValuB_X2_I0+18+1], v[vgprLocalReadAddrB] offset:19648 // L -> Reg lro=32 swapByteOffset=0 ti=16 vIdx=9 rIdx=0 oIdx=0 buffer=2 iui=0
s_waitcnt lgkmcnt(15)                              // lgkmcnt=0 vmcnt=-1wait for prior local read local write old=25, new=26 newLW=0 newLR=1
/* pack scheduling: packAIdx:2, packBIdx:0 */
v_or_b32 v[vgprValuA_X1_I0+0], v[vgprValuA_X1_I0+0], v[vgprValuA_X1_I0_D1+0] // pack two half Vgpr to one Vgpr
v_or_b32 v[vgprValuA_X1_I0+1], v[vgprValuA_X1_I0+1], v[vgprValuA_X1_I0_D1+1] // pack two half Vgpr to one Vgpr
	;; [unrolled: 1-line block ×4, first 2 shown]
v_mfma_f32_16x16x16_bf16 a[0+0:3+0], v[vgprValuB_X1_I0+0+0+0:vgprValuB_X1_I0+0+0+0+1], v[vgprValuA_X1_I0+0+0+0:vgprValuA_X1_I0+0+0+0+1], a[0:3]
/*  mfmaIndex:57  */
_ds_load_b64 v[vgprValuB_X2_I0+20:vgprValuB_X2_I0+20+1], v[vgprLocalReadAddrB] offset:21824 // L -> Reg lro=32 swapByteOffset=0 ti=16 vIdx=10 rIdx=0 oIdx=0 buffer=2 iui=0
/* pack scheduling: packAIdx:4, packBIdx:0 */
v_or_b32 v[vgprValuA_X1_I0+4], v[vgprValuA_X1_I0+4], v[vgprValuA_X1_I0_D1+4] // pack two half Vgpr to one Vgpr
v_or_b32 v[vgprValuA_X1_I0+5], v[vgprValuA_X1_I0+5], v[vgprValuA_X1_I0_D1+5] // pack two half Vgpr to one Vgpr
v_mfma_f32_16x16x16_bf16 a[4+0:7+0], v[vgprValuB_X1_I0+0+0+0:vgprValuB_X1_I0+0+0+0+1], v[vgprValuA_X1_I0+2+0+0:vgprValuA_X1_I0+2+0+0+1], a[4:7]
/*  mfmaIndex:58  */
_ds_load_b64 v[vgprValuB_X2_I0+22:vgprValuB_X2_I0+22+1], v[vgprLocalReadAddrB] offset:24000 // L -> Reg lro=32 swapByteOffset=0 ti=16 vIdx=11 rIdx=0 oIdx=0 buffer=2 iui=0
/* pack scheduling: packAIdx:6, packBIdx:0 */
v_or_b32 v[vgprValuA_X1_I0+6], v[vgprValuA_X1_I0+6], v[vgprValuA_X1_I0_D1+6] // pack two half Vgpr to one Vgpr
v_or_b32 v[vgprValuA_X1_I0+7], v[vgprValuA_X1_I0+7], v[vgprValuA_X1_I0_D1+7] // pack two half Vgpr to one Vgpr
v_mfma_f32_16x16x16_bf16 a[8+0:11+0], v[vgprValuB_X1_I0+0+0+0:vgprValuB_X1_I0+0+0+0+1], v[vgprValuA_X1_I0+4+0+0:vgprValuA_X1_I0+4+0+0+1], a[8:11]
/*  mfmaIndex:59  */
_ds_load_b64 v[vgprValuB_X2_I0+24:vgprValuB_X2_I0+24+1], v[vgprLocalReadAddrB] offset:26176 // L -> Reg lro=32 swapByteOffset=0 ti=16 vIdx=12 rIdx=0 oIdx=0 buffer=2 iui=0
v_mfma_f32_16x16x16_bf16 a[12+0:15+0], v[vgprValuB_X1_I0+0+0+0:vgprValuB_X1_I0+0+0+0+1], v[vgprValuA_X1_I0+6+0+0:vgprValuA_X1_I0+6+0+0+1], a[12:15]
/*  mfmaIndex:60  */
_ds_load_b64 v[vgprValuB_X2_I0+26:vgprValuB_X2_I0+26+1], v[vgprLocalReadAddrB] offset:28352 // L -> Reg lro=32 swapByteOffset=0 ti=16 vIdx=13 rIdx=0 oIdx=0 buffer=2 iui=0
v_mfma_f32_16x16x16_bf16 a[28+0:31+0], v[vgprValuB_X1_I0+2+0+0:vgprValuB_X1_I0+2+0+0+1], v[vgprValuA_X1_I0+6+0+0:vgprValuA_X1_I0+6+0+0+1], a[28:31]
/*  mfmaIndex:61  */
/* localReadsVacancy: latencyLeft 2 */
_ds_load_u16 v[vgprValuA_X3_I0+0], v[vgprLocalReadAddrA] offset:24576 // L -> Reg lro=12288 swapByteOffset=0 ti=256 vIdx=0 rIdx=0 oIdx=0 buffer=3 iui=0
v_mfma_f32_16x16x16_bf16 a[24+0:27+0], v[vgprValuB_X1_I0+2+0+0:vgprValuB_X1_I0+2+0+0+1], v[vgprValuA_X1_I0+4+0+0:vgprValuA_X1_I0+4+0+0+1], a[24:27]
/*  mfmaIndex:62  */
/* localReadsVacancy: latencyLeft 2 */
_ds_load_u16_d16_hi v[vgprValuA_X3_I0_D1+0], v[vgprLocalReadAddrA] offset:25088 // L -> Reg lro=12288 swapByteOffset=0 ti=256 vIdx=0 rIdx=1 oIdx=0 buffer=3 iui=0
v_mfma_f32_16x16x16_bf16 a[20+0:23+0], v[vgprValuB_X1_I0+2+0+0:vgprValuB_X1_I0+2+0+0+1], v[vgprValuA_X1_I0+2+0+0:vgprValuA_X1_I0+2+0+0+1], a[20:23]
/*  mfmaIndex:63  */
/* localReadsVacancy: latencyLeft 2 */
_ds_load_u16 v[vgprValuA_X3_I0+1], v[vgprLocalReadAddrA] offset:25600 // L -> Reg lro=12288 swapByteOffset=0 ti=256 vIdx=0 rIdx=2 oIdx=0 buffer=3 iui=0
v_mfma_f32_16x16x16_bf16 a[16+0:19+0], v[vgprValuB_X1_I0+2+0+0:vgprValuB_X1_I0+2+0+0+1], v[vgprValuA_X1_I0+0+0+0:vgprValuA_X1_I0+0+0+0+1], a[16:19]
/*  mfmaIndex:64  */
/* localReadsVacancy: latencyLeft 2 */
_ds_load_u16_d16_hi v[vgprValuA_X3_I0_D1+1], v[vgprLocalReadAddrA] offset:26112 // L -> Reg lro=12288 swapByteOffset=0 ti=256 vIdx=0 rIdx=3 oIdx=0 buffer=3 iui=0
v_mfma_f32_16x16x16_bf16 a[32+0:35+0], v[vgprValuB_X1_I0+4+0+0:vgprValuB_X1_I0+4+0+0+1], v[vgprValuA_X1_I0+0+0+0:vgprValuA_X1_I0+0+0+0+1], a[32:35]
/*  mfmaIndex:65  */
/* localReadsVacancy: latencyLeft 2 */
_ds_load_b64 v[vgprValuB_X3_I0+0:vgprValuB_X3_I0+0+1], v[vgprLocalReadAddrB] offset:96 // L -> Reg lro=48 swapByteOffset=0 ti=16 vIdx=0 rIdx=0 oIdx=0 buffer=3 iui=0
v_mfma_f32_16x16x16_bf16 a[36+0:39+0], v[vgprValuB_X1_I0+4+0+0:vgprValuB_X1_I0+4+0+0+1], v[vgprValuA_X1_I0+2+0+0:vgprValuA_X1_I0+2+0+0+1], a[36:39]
/*  mfmaIndex:66  */
/* localReadsVacancy: latencyLeft 2 */
_ds_load_u16 v[vgprValuA_X3_I0+2], v[vgprLocalReadAddrA] offset:24578 // L -> Reg lro=12288 swapByteOffset=0 ti=256 vIdx=0 rIdx=0 oIdx=0 buffer=3 iui=0
v_mfma_f32_16x16x16_bf16 a[40+0:43+0], v[vgprValuB_X1_I0+4+0+0:vgprValuB_X1_I0+4+0+0+1], v[vgprValuA_X1_I0+4+0+0:vgprValuA_X1_I0+4+0+0+1], a[40:43]
/*  mfmaIndex:67  */
/* localReadsVacancy: latencyLeft 2 */
_ds_load_u16_d16_hi v[vgprValuA_X3_I0_D1+2], v[vgprLocalReadAddrA] offset:25090 // L -> Reg lro=12288 swapByteOffset=0 ti=256 vIdx=0 rIdx=1 oIdx=0 buffer=3 iui=0
v_mfma_f32_16x16x16_bf16 a[44+0:47+0], v[vgprValuB_X1_I0+4+0+0:vgprValuB_X1_I0+4+0+0+1], v[vgprValuA_X1_I0+6+0+0:vgprValuA_X1_I0+6+0+0+1], a[44:47]
/*  mfmaIndex:68  */
/* localReadsVacancy: latencyLeft 2 */
_ds_load_u16 v[vgprValuA_X3_I0+3], v[vgprLocalReadAddrA] offset:25602 // L -> Reg lro=12288 swapByteOffset=0 ti=256 vIdx=0 rIdx=2 oIdx=0 buffer=3 iui=0
v_mfma_f32_16x16x16_bf16 a[60+0:63+0], v[vgprValuB_X1_I0+6+0+0:vgprValuB_X1_I0+6+0+0+1], v[vgprValuA_X1_I0+6+0+0:vgprValuA_X1_I0+6+0+0+1], a[60:63]
/*  mfmaIndex:69  */
/* localReadsVacancy: latencyLeft 2 */
_ds_load_u16_d16_hi v[vgprValuA_X3_I0_D1+3], v[vgprLocalReadAddrA] offset:26114 // L -> Reg lro=12288 swapByteOffset=0 ti=256 vIdx=0 rIdx=3 oIdx=0 buffer=3 iui=0
v_mfma_f32_16x16x16_bf16 a[56+0:59+0], v[vgprValuB_X1_I0+6+0+0:vgprValuB_X1_I0+6+0+0+1], v[vgprValuA_X1_I0+4+0+0:vgprValuA_X1_I0+4+0+0+1], a[56:59]
/*  mfmaIndex:70  */
/* localReadsVacancy: latencyLeft 2 */
_ds_load_u16 v[vgprValuA_X3_I0+4], v[vgprLocalReadAddrA] offset:24580 // L -> Reg lro=12288 swapByteOffset=0 ti=256 vIdx=0 rIdx=0 oIdx=0 buffer=3 iui=0
v_mfma_f32_16x16x16_bf16 a[52+0:55+0], v[vgprValuB_X1_I0+6+0+0:vgprValuB_X1_I0+6+0+0+1], v[vgprValuA_X1_I0+2+0+0:vgprValuA_X1_I0+2+0+0+1], a[52:55]
/*  mfmaIndex:71  */
/* localReadsVacancy: latencyLeft 2 */
_ds_load_u16_d16_hi v[vgprValuA_X3_I0_D1+4], v[vgprLocalReadAddrA] offset:25092 // L -> Reg lro=12288 swapByteOffset=0 ti=256 vIdx=0 rIdx=1 oIdx=0 buffer=3 iui=0
v_mfma_f32_16x16x16_bf16 a[48+0:51+0], v[vgprValuB_X1_I0+6+0+0:vgprValuB_X1_I0+6+0+0+1], v[vgprValuA_X1_I0+0+0+0:vgprValuA_X1_I0+0+0+0+1], a[48:51]
/*  mfmaIndex:72  */
/* localReadsVacancy: latencyLeft 2 */
_ds_load_u16 v[vgprValuA_X3_I0+5], v[vgprLocalReadAddrA] offset:25604 // L -> Reg lro=12288 swapByteOffset=0 ti=256 vIdx=0 rIdx=2 oIdx=0 buffer=3 iui=0
v_mfma_f32_16x16x16_bf16 a[64+0:67+0], v[vgprValuB_X1_I0+8+0+0:vgprValuB_X1_I0+8+0+0+1], v[vgprValuA_X1_I0+0+0+0:vgprValuA_X1_I0+0+0+0+1], a[64:67]
/*  mfmaIndex:73  */
/* localReadsVacancy: latencyLeft 2 */
_ds_load_u16_d16_hi v[vgprValuA_X3_I0_D1+5], v[vgprLocalReadAddrA] offset:26116 // L -> Reg lro=12288 swapByteOffset=0 ti=256 vIdx=0 rIdx=3 oIdx=0 buffer=3 iui=0
v_mfma_f32_16x16x16_bf16 a[68+0:71+0], v[vgprValuB_X1_I0+8+0+0:vgprValuB_X1_I0+8+0+0+1], v[vgprValuA_X1_I0+2+0+0:vgprValuA_X1_I0+2+0+0+1], a[68:71]
/*  mfmaIndex:74  */
/* localReadsVacancy: latencyLeft 2 */
_ds_load_u16 v[vgprValuA_X3_I0+6], v[vgprLocalReadAddrA] offset:24582 // L -> Reg lro=12288 swapByteOffset=0 ti=256 vIdx=0 rIdx=0 oIdx=0 buffer=3 iui=0
v_mfma_f32_16x16x16_bf16 a[72+0:75+0], v[vgprValuB_X1_I0+8+0+0:vgprValuB_X1_I0+8+0+0+1], v[vgprValuA_X1_I0+4+0+0:vgprValuA_X1_I0+4+0+0+1], a[72:75]
/*  mfmaIndex:75  */
/* localReadsVacancy: latencyLeft 2 */
_ds_load_u16_d16_hi v[vgprValuA_X3_I0_D1+6], v[vgprLocalReadAddrA] offset:25094 // L -> Reg lro=12288 swapByteOffset=0 ti=256 vIdx=0 rIdx=1 oIdx=0 buffer=3 iui=0
v_mfma_f32_16x16x16_bf16 a[76+0:79+0], v[vgprValuB_X1_I0+8+0+0:vgprValuB_X1_I0+8+0+0+1], v[vgprValuA_X1_I0+6+0+0:vgprValuA_X1_I0+6+0+0+1], a[76:79]
/*  mfmaIndex:76  */
/* localReadsVacancy: latencyLeft 2 */
_ds_load_u16 v[vgprValuA_X3_I0+7], v[vgprLocalReadAddrA] offset:25606 // L -> Reg lro=12288 swapByteOffset=0 ti=256 vIdx=0 rIdx=2 oIdx=0 buffer=3 iui=0
v_mfma_f32_16x16x16_bf16 a[92+0:95+0], v[vgprValuB_X1_I0+10+0+0:vgprValuB_X1_I0+10+0+0+1], v[vgprValuA_X1_I0+6+0+0:vgprValuA_X1_I0+6+0+0+1], a[92:95]
/*  mfmaIndex:77  */
/* localReadsVacancy: latencyLeft 2 */
_ds_load_u16_d16_hi v[vgprValuA_X3_I0_D1+7], v[vgprLocalReadAddrA] offset:26118 // L -> Reg lro=12288 swapByteOffset=0 ti=256 vIdx=0 rIdx=3 oIdx=0 buffer=3 iui=0
v_mfma_f32_16x16x16_bf16 a[88+0:91+0], v[vgprValuB_X1_I0+10+0+0:vgprValuB_X1_I0+10+0+0+1], v[vgprValuA_X1_I0+4+0+0:vgprValuA_X1_I0+4+0+0+1], a[88:91]
/*  mfmaIndex:78  */
/* localReadsVacancy: latencyLeft 2 */
_ds_load_b64 v[vgprValuB_X3_I0+2:vgprValuB_X3_I0+2+1], v[vgprLocalReadAddrB] offset:2272 // L -> Reg lro=48 swapByteOffset=0 ti=16 vIdx=1 rIdx=0 oIdx=0 buffer=3 iui=0
v_mfma_f32_16x16x16_bf16 a[84+0:87+0], v[vgprValuB_X1_I0+10+0+0:vgprValuB_X1_I0+10+0+0+1], v[vgprValuA_X1_I0+2+0+0:vgprValuA_X1_I0+2+0+0+1], a[84:87]
/*  mfmaIndex:79  */
/* localReadsVacancy: latencyLeft 2 */
_ds_load_b64 v[vgprValuB_X3_I0+4:vgprValuB_X3_I0+4+1], v[vgprLocalReadAddrB] offset:4448 // L -> Reg lro=48 swapByteOffset=0 ti=16 vIdx=2 rIdx=0 oIdx=0 buffer=3 iui=0
	;; [unrolled: 4-line block ×13, first 2 shown]
v_mfma_f32_16x16x16_bf16 a[136+0:139+0], v[vgprValuB_X1_I0+16+0+0:vgprValuB_X1_I0+16+0+0+1], v[vgprValuA_X1_I0+4+0+0:vgprValuA_X1_I0+4+0+0+1], a[136:139]
/*  mfmaIndex:91  */
/* localReadsVacancy: latencyLeft 2 */
v_mfma_f32_16x16x16_bf16 a[140+0:143+0], v[vgprValuB_X1_I0+16+0+0:vgprValuB_X1_I0+16+0+0+1], v[vgprValuA_X1_I0+6+0+0:vgprValuA_X1_I0+6+0+0+1], a[140:143]
/*  mfmaIndex:92  */
/* localReadsVacancy: latencyLeft 2 */
	;; [unrolled: 3-line block ×21, first 2 shown]
v_mfma_f32_16x16x16_bf16 a[208+0:211+0], v[vgprValuB_X1_I0+26+0+0:vgprValuB_X1_I0+26+0+0+1], v[vgprValuA_X1_I0+0+0+0:vgprValuA_X1_I0+0+0+0+1], a[208:211]
/* numPrefetchIter=0 */
/* dataAtIterA=0 numReadsIterA=2 skipReadsIterA=1 readsPerIterA=16 */
/* dataAtIterB=0 numReadsIterB=2 skipReadsIterB=1 readsPerIterB=14 */


/* iter 2 (last unrolled loop) */

/*  grEndMfmaIndex:0, lwStartMfmaIndex:183, lwEndMfmaIndex:183  */
/*  numMfmaForLR:35, barrierMfmaIndex:188, LocalWritePerMfma:0.250 */
/*  mfmaIndex:112  */
/* localReadsVacancy: latencyLeft 2 */
s_waitcnt lgkmcnt(15)                              // lgkmcnt=0 vmcnt=-1wait for prior local read local write old=30, new=30 newLW=0 newLR=0
/* pack scheduling: packAIdx:2, packBIdx:0 */
v_or_b32 v[vgprValuA_X2_I0+0], v[vgprValuA_X2_I0+0], v[vgprValuA_X2_I0_D1+0] // pack two half Vgpr to one Vgpr
v_or_b32 v[vgprValuA_X2_I0+1], v[vgprValuA_X2_I0+1], v[vgprValuA_X2_I0_D1+1] // pack two half Vgpr to one Vgpr
v_or_b32 v[vgprValuA_X2_I0+2], v[vgprValuA_X2_I0+2], v[vgprValuA_X2_I0_D1+2] // pack two half Vgpr to one Vgpr
v_or_b32 v[vgprValuA_X2_I0+3], v[vgprValuA_X2_I0+3], v[vgprValuA_X2_I0_D1+3] // pack two half Vgpr to one Vgpr
v_mfma_f32_16x16x16_bf16 a[0+0:3+0], v[vgprValuB_X2_I0+0+0+0:vgprValuB_X2_I0+0+0+0+1], v[vgprValuA_X2_I0+0+0+0:vgprValuA_X2_I0+0+0+0+1], a[0:3]
/*  mfmaIndex:113  */
/* localReadsVacancy: latencyLeft 2 */
/* pack scheduling: packAIdx:4, packBIdx:0 */
v_or_b32 v[vgprValuA_X2_I0+4], v[vgprValuA_X2_I0+4], v[vgprValuA_X2_I0_D1+4] // pack two half Vgpr to one Vgpr
v_or_b32 v[vgprValuA_X2_I0+5], v[vgprValuA_X2_I0+5], v[vgprValuA_X2_I0_D1+5] // pack two half Vgpr to one Vgpr
v_mfma_f32_16x16x16_bf16 a[4+0:7+0], v[vgprValuB_X2_I0+0+0+0:vgprValuB_X2_I0+0+0+0+1], v[vgprValuA_X2_I0+2+0+0:vgprValuA_X2_I0+2+0+0+1], a[4:7]
/*  mfmaIndex:114  */
/* localReadsVacancy: latencyLeft 2 */
/* pack scheduling: packAIdx:6, packBIdx:0 */
v_or_b32 v[vgprValuA_X2_I0+6], v[vgprValuA_X2_I0+6], v[vgprValuA_X2_I0_D1+6] // pack two half Vgpr to one Vgpr
v_or_b32 v[vgprValuA_X2_I0+7], v[vgprValuA_X2_I0+7], v[vgprValuA_X2_I0_D1+7] // pack two half Vgpr to one Vgpr
v_mfma_f32_16x16x16_bf16 a[8+0:11+0], v[vgprValuB_X2_I0+0+0+0:vgprValuB_X2_I0+0+0+0+1], v[vgprValuA_X2_I0+4+0+0:vgprValuA_X2_I0+4+0+0+1], a[8:11]
/*  mfmaIndex:115  */
/* localReadsVacancy: latencyLeft 2 */
v_mfma_f32_16x16x16_bf16 a[12+0:15+0], v[vgprValuB_X2_I0+0+0+0:vgprValuB_X2_I0+0+0+0+1], v[vgprValuA_X2_I0+6+0+0:vgprValuA_X2_I0+6+0+0+1], a[12:15]
/*  mfmaIndex:116  */
/* localReadsVacancy: latencyLeft 2 */
	;; [unrolled: 3-line block ×53, first 2 shown]
v_mfma_f32_16x16x16_bf16 a[208+0:211+0], v[vgprValuB_X2_I0+26+0+0:vgprValuB_X2_I0+26+0+0+1], v[vgprValuA_X2_I0+0+0+0:vgprValuA_X2_I0+0+0+0+1], a[208:211]
/* numPrefetchIter=0 */
/* dataAtIterA=1 numReadsIterA=3 skipReadsIterA=1 readsPerIterA=16 */
/* dataAtIterB=1 numReadsIterB=3 skipReadsIterB=1 readsPerIterB=14 */


/* iter 3 (last unrolled loop) */

/*  grEndMfmaIndex:0, lwStartMfmaIndex:183, lwEndMfmaIndex:183  */
/*  numMfmaForLR:35, barrierMfmaIndex:188, LocalWritePerMfma:0.250 */
/*  mfmaIndex:168  */
s_waitcnt lgkmcnt(0)                               // lgkmcnt=0 vmcnt=-1wait for prior local read local write old=0, new=0 newLW=0 newLR=0
/* pack scheduling: packAIdx:2, packBIdx:0 */
v_or_b32 v[vgprValuA_X3_I0+0], v[vgprValuA_X3_I0+0], v[vgprValuA_X3_I0_D1+0] // pack two half Vgpr to one Vgpr
v_or_b32 v[vgprValuA_X3_I0+1], v[vgprValuA_X3_I0+1], v[vgprValuA_X3_I0_D1+1] // pack two half Vgpr to one Vgpr
	;; [unrolled: 1-line block ×4, first 2 shown]
v_mfma_f32_16x16x16_bf16 a[0+0:3+0], v[vgprValuB_X3_I0+0+0+0:vgprValuB_X3_I0+0+0+0+1], v[vgprValuA_X3_I0+0+0+0:vgprValuA_X3_I0+0+0+0+1], a[0:3]
/*  mfmaIndex:169  */
/* pack scheduling: packAIdx:4, packBIdx:0 */
v_or_b32 v[vgprValuA_X3_I0+4], v[vgprValuA_X3_I0+4], v[vgprValuA_X3_I0_D1+4] // pack two half Vgpr to one Vgpr
v_or_b32 v[vgprValuA_X3_I0+5], v[vgprValuA_X3_I0+5], v[vgprValuA_X3_I0_D1+5] // pack two half Vgpr to one Vgpr
v_mfma_f32_16x16x16_bf16 a[4+0:7+0], v[vgprValuB_X3_I0+0+0+0:vgprValuB_X3_I0+0+0+0+1], v[vgprValuA_X3_I0+2+0+0:vgprValuA_X3_I0+2+0+0+1], a[4:7]
/*  mfmaIndex:170  */
/* pack scheduling: packAIdx:6, packBIdx:0 */
v_or_b32 v[vgprValuA_X3_I0+6], v[vgprValuA_X3_I0+6], v[vgprValuA_X3_I0_D1+6] // pack two half Vgpr to one Vgpr
v_or_b32 v[vgprValuA_X3_I0+7], v[vgprValuA_X3_I0+7], v[vgprValuA_X3_I0_D1+7] // pack two half Vgpr to one Vgpr
v_mfma_f32_16x16x16_bf16 a[8+0:11+0], v[vgprValuB_X3_I0+0+0+0:vgprValuB_X3_I0+0+0+0+1], v[vgprValuA_X3_I0+4+0+0:vgprValuA_X3_I0+4+0+0+1], a[8:11]
/*  mfmaIndex:171  */
v_mfma_f32_16x16x16_bf16 a[12+0:15+0], v[vgprValuB_X3_I0+0+0+0:vgprValuB_X3_I0+0+0+0+1], v[vgprValuA_X3_I0+6+0+0:vgprValuA_X3_I0+6+0+0+1], a[12:15]
/*  mfmaIndex:172  */
v_mfma_f32_16x16x16_bf16 a[28+0:31+0], v[vgprValuB_X3_I0+2+0+0:vgprValuB_X3_I0+2+0+0+1], v[vgprValuA_X3_I0+6+0+0:vgprValuA_X3_I0+6+0+0+1], a[28:31]
/*  mfmaIndex:173  */
v_mfma_f32_16x16x16_bf16 a[24+0:27+0], v[vgprValuB_X3_I0+2+0+0:vgprValuB_X3_I0+2+0+0+1], v[vgprValuA_X3_I0+4+0+0:vgprValuA_X3_I0+4+0+0+1], a[24:27]
/*  mfmaIndex:174  */
v_mfma_f32_16x16x16_bf16 a[20+0:23+0], v[vgprValuB_X3_I0+2+0+0:vgprValuB_X3_I0+2+0+0+1], v[vgprValuA_X3_I0+2+0+0:vgprValuA_X3_I0+2+0+0+1], a[20:23]
/*  mfmaIndex:175  */
v_mfma_f32_16x16x16_bf16 a[16+0:19+0], v[vgprValuB_X3_I0+2+0+0:vgprValuB_X3_I0+2+0+0+1], v[vgprValuA_X3_I0+0+0+0:vgprValuA_X3_I0+0+0+0+1], a[16:19]
/*  mfmaIndex:176  */
v_mfma_f32_16x16x16_bf16 a[32+0:35+0], v[vgprValuB_X3_I0+4+0+0:vgprValuB_X3_I0+4+0+0+1], v[vgprValuA_X3_I0+0+0+0:vgprValuA_X3_I0+0+0+0+1], a[32:35]
/*  mfmaIndex:177  */
v_mfma_f32_16x16x16_bf16 a[36+0:39+0], v[vgprValuB_X3_I0+4+0+0:vgprValuB_X3_I0+4+0+0+1], v[vgprValuA_X3_I0+2+0+0:vgprValuA_X3_I0+2+0+0+1], a[36:39]
/*  mfmaIndex:178  */
v_mfma_f32_16x16x16_bf16 a[40+0:43+0], v[vgprValuB_X3_I0+4+0+0:vgprValuB_X3_I0+4+0+0+1], v[vgprValuA_X3_I0+4+0+0:vgprValuA_X3_I0+4+0+0+1], a[40:43]
/*  mfmaIndex:179  */
v_mfma_f32_16x16x16_bf16 a[44+0:47+0], v[vgprValuB_X3_I0+4+0+0:vgprValuB_X3_I0+4+0+0+1], v[vgprValuA_X3_I0+6+0+0:vgprValuA_X3_I0+6+0+0+1], a[44:47]
/*  mfmaIndex:180  */
v_mfma_f32_16x16x16_bf16 a[60+0:63+0], v[vgprValuB_X3_I0+6+0+0:vgprValuB_X3_I0+6+0+0+1], v[vgprValuA_X3_I0+6+0+0:vgprValuA_X3_I0+6+0+0+1], a[60:63]
/*  mfmaIndex:181  */
v_mfma_f32_16x16x16_bf16 a[56+0:59+0], v[vgprValuB_X3_I0+6+0+0:vgprValuB_X3_I0+6+0+0+1], v[vgprValuA_X3_I0+4+0+0:vgprValuA_X3_I0+4+0+0+1], a[56:59]
/*  mfmaIndex:182  */
/* 1 LDS buffer: read-sync-write */
s_waitcnt lgkmcnt(0)                               // 
s_barrier                                          // 
v_mfma_f32_16x16x16_bf16 a[52+0:55+0], v[vgprValuB_X3_I0+6+0+0:vgprValuB_X3_I0+6+0+0+1], v[vgprValuA_X3_I0+2+0+0:vgprValuA_X3_I0+2+0+0+1], a[52:55]
/*  mfmaIndex:183  */
s_setprio 3                                        // store optimization
v_mfma_f32_16x16x16_bf16 a[48+0:51+0], v[vgprValuB_X3_I0+6+0+0:vgprValuB_X3_I0+6+0+0+1], v[vgprValuA_X3_I0+0+0+0:vgprValuA_X3_I0+0+0+0+1], a[48:51]
/*  mfmaIndex:184  */
v_mfma_f32_16x16x16_bf16 a[64+0:67+0], v[vgprValuB_X3_I0+8+0+0:vgprValuB_X3_I0+8+0+0+1], v[vgprValuA_X3_I0+0+0+0:vgprValuA_X3_I0+0+0+0+1], a[64:67]
/*  mfmaIndex:185  */
	;; [unrolled: 2-line block ×4, first 2 shown]
v_mfma_f32_16x16x16_bf16 a[76+0:79+0], v[vgprValuB_X3_I0+8+0+0:vgprValuB_X3_I0+8+0+0+1], v[vgprValuA_X3_I0+6+0+0:vgprValuA_X3_I0+6+0+0+1], a[76:79]
s_setprio 0                                        // store optimization
/*  mfmaIndex:188  */
v_mfma_f32_16x16x16_bf16 a[92+0:95+0], v[vgprValuB_X3_I0+10+0+0:vgprValuB_X3_I0+10+0+0+1], v[vgprValuA_X3_I0+6+0+0:vgprValuA_X3_I0+6+0+0+1], a[92:95]
/*  mfmaIndex:189  */
s_setprio 3                                        // store optimization
v_mfma_f32_16x16x16_bf16 a[88+0:91+0], v[vgprValuB_X3_I0+10+0+0:vgprValuB_X3_I0+10+0+0+1], v[vgprValuA_X3_I0+4+0+0:vgprValuA_X3_I0+4+0+0+1], a[88:91]
/*  mfmaIndex:190  */
v_mfma_f32_16x16x16_bf16 a[84+0:87+0], v[vgprValuB_X3_I0+10+0+0:vgprValuB_X3_I0+10+0+0+1], v[vgprValuA_X3_I0+2+0+0:vgprValuA_X3_I0+2+0+0+1], a[84:87]
/*  mfmaIndex:191  */
v_mfma_f32_16x16x16_bf16 a[80+0:83+0], v[vgprValuB_X3_I0+10+0+0:vgprValuB_X3_I0+10+0+0+1], v[vgprValuA_X3_I0+0+0+0:vgprValuA_X3_I0+0+0+0+1], a[80:83]
/*  mfmaIndex:192  */
v_mfma_f32_16x16x16_bf16 a[96+0:99+0], v[vgprValuB_X3_I0+12+0+0:vgprValuB_X3_I0+12+0+0+1], v[vgprValuA_X3_I0+0+0+0:vgprValuA_X3_I0+0+0+0+1], a[96:99]
/*  mfmaIndex:193  */
v_mfma_f32_16x16x16_bf16 a[100+0:103+0], v[vgprValuB_X3_I0+12+0+0:vgprValuB_X3_I0+12+0+0+1], v[vgprValuA_X3_I0+2+0+0:vgprValuA_X3_I0+2+0+0+1], a[100:103]
/*  mfmaIndex:194  */
v_mfma_f32_16x16x16_bf16 a[104+0:107+0], v[vgprValuB_X3_I0+12+0+0:vgprValuB_X3_I0+12+0+0+1], v[vgprValuA_X3_I0+4+0+0:vgprValuA_X3_I0+4+0+0+1], a[104:107]
/*  mfmaIndex:195  */
v_mfma_f32_16x16x16_bf16 a[108+0:111+0], v[vgprValuB_X3_I0+12+0+0:vgprValuB_X3_I0+12+0+0+1], v[vgprValuA_X3_I0+6+0+0:vgprValuA_X3_I0+6+0+0+1], a[108:111]
/*  mfmaIndex:196  */
v_mfma_f32_16x16x16_bf16 a[124+0:127+0], v[vgprValuB_X3_I0+14+0+0:vgprValuB_X3_I0+14+0+0+1], v[vgprValuA_X3_I0+6+0+0:vgprValuA_X3_I0+6+0+0+1], a[124:127]
/*  mfmaIndex:197  */
v_mfma_f32_16x16x16_bf16 a[120+0:123+0], v[vgprValuB_X3_I0+14+0+0:vgprValuB_X3_I0+14+0+0+1], v[vgprValuA_X3_I0+4+0+0:vgprValuA_X3_I0+4+0+0+1], a[120:123]
/*  mfmaIndex:198  */
v_mfma_f32_16x16x16_bf16 a[116+0:119+0], v[vgprValuB_X3_I0+14+0+0:vgprValuB_X3_I0+14+0+0+1], v[vgprValuA_X3_I0+2+0+0:vgprValuA_X3_I0+2+0+0+1], a[116:119]
/*  mfmaIndex:199  */
v_mfma_f32_16x16x16_bf16 a[112+0:115+0], v[vgprValuB_X3_I0+14+0+0:vgprValuB_X3_I0+14+0+0+1], v[vgprValuA_X3_I0+0+0+0:vgprValuA_X3_I0+0+0+0+1], a[112:115]
/*  mfmaIndex:200  */
v_mfma_f32_16x16x16_bf16 a[128+0:131+0], v[vgprValuB_X3_I0+16+0+0:vgprValuB_X3_I0+16+0+0+1], v[vgprValuA_X3_I0+0+0+0:vgprValuA_X3_I0+0+0+0+1], a[128:131]
/*  mfmaIndex:201  */
v_mfma_f32_16x16x16_bf16 a[132+0:135+0], v[vgprValuB_X3_I0+16+0+0:vgprValuB_X3_I0+16+0+0+1], v[vgprValuA_X3_I0+2+0+0:vgprValuA_X3_I0+2+0+0+1], a[132:135]
/*  mfmaIndex:202  */
v_mfma_f32_16x16x16_bf16 a[136+0:139+0], v[vgprValuB_X3_I0+16+0+0:vgprValuB_X3_I0+16+0+0+1], v[vgprValuA_X3_I0+4+0+0:vgprValuA_X3_I0+4+0+0+1], a[136:139]
/*  mfmaIndex:203  */
v_mfma_f32_16x16x16_bf16 a[140+0:143+0], v[vgprValuB_X3_I0+16+0+0:vgprValuB_X3_I0+16+0+0+1], v[vgprValuA_X3_I0+6+0+0:vgprValuA_X3_I0+6+0+0+1], a[140:143]
/*  mfmaIndex:204  */
v_mfma_f32_16x16x16_bf16 a[156+0:159+0], v[vgprValuB_X3_I0+18+0+0:vgprValuB_X3_I0+18+0+0+1], v[vgprValuA_X3_I0+6+0+0:vgprValuA_X3_I0+6+0+0+1], a[156:159]
/*  mfmaIndex:205  */
v_mfma_f32_16x16x16_bf16 a[152+0:155+0], v[vgprValuB_X3_I0+18+0+0:vgprValuB_X3_I0+18+0+0+1], v[vgprValuA_X3_I0+4+0+0:vgprValuA_X3_I0+4+0+0+1], a[152:155]
/*  mfmaIndex:206  */
v_mfma_f32_16x16x16_bf16 a[148+0:151+0], v[vgprValuB_X3_I0+18+0+0:vgprValuB_X3_I0+18+0+0+1], v[vgprValuA_X3_I0+2+0+0:vgprValuA_X3_I0+2+0+0+1], a[148:151]
/*  mfmaIndex:207  */
v_mfma_f32_16x16x16_bf16 a[144+0:147+0], v[vgprValuB_X3_I0+18+0+0:vgprValuB_X3_I0+18+0+0+1], v[vgprValuA_X3_I0+0+0+0:vgprValuA_X3_I0+0+0+0+1], a[144:147]
/*  mfmaIndex:208  */
v_mfma_f32_16x16x16_bf16 a[160+0:163+0], v[vgprValuB_X3_I0+20+0+0:vgprValuB_X3_I0+20+0+0+1], v[vgprValuA_X3_I0+0+0+0:vgprValuA_X3_I0+0+0+0+1], a[160:163]
/*  mfmaIndex:209  */
v_mfma_f32_16x16x16_bf16 a[164+0:167+0], v[vgprValuB_X3_I0+20+0+0:vgprValuB_X3_I0+20+0+0+1], v[vgprValuA_X3_I0+2+0+0:vgprValuA_X3_I0+2+0+0+1], a[164:167]
/*  mfmaIndex:210  */
v_mfma_f32_16x16x16_bf16 a[168+0:171+0], v[vgprValuB_X3_I0+20+0+0:vgprValuB_X3_I0+20+0+0+1], v[vgprValuA_X3_I0+4+0+0:vgprValuA_X3_I0+4+0+0+1], a[168:171]
/*  mfmaIndex:211  */
v_mfma_f32_16x16x16_bf16 a[172+0:175+0], v[vgprValuB_X3_I0+20+0+0:vgprValuB_X3_I0+20+0+0+1], v[vgprValuA_X3_I0+6+0+0:vgprValuA_X3_I0+6+0+0+1], a[172:175]
/*  mfmaIndex:212  */
v_mfma_f32_16x16x16_bf16 a[188+0:191+0], v[vgprValuB_X3_I0+22+0+0:vgprValuB_X3_I0+22+0+0+1], v[vgprValuA_X3_I0+6+0+0:vgprValuA_X3_I0+6+0+0+1], a[188:191]
/*  mfmaIndex:213  */
v_mfma_f32_16x16x16_bf16 a[184+0:187+0], v[vgprValuB_X3_I0+22+0+0:vgprValuB_X3_I0+22+0+0+1], v[vgprValuA_X3_I0+4+0+0:vgprValuA_X3_I0+4+0+0+1], a[184:187]
/*  mfmaIndex:214  */
v_mfma_f32_16x16x16_bf16 a[180+0:183+0], v[vgprValuB_X3_I0+22+0+0:vgprValuB_X3_I0+22+0+0+1], v[vgprValuA_X3_I0+2+0+0:vgprValuA_X3_I0+2+0+0+1], a[180:183]
/*  mfmaIndex:215  */
v_mfma_f32_16x16x16_bf16 a[176+0:179+0], v[vgprValuB_X3_I0+22+0+0:vgprValuB_X3_I0+22+0+0+1], v[vgprValuA_X3_I0+0+0+0:vgprValuA_X3_I0+0+0+0+1], a[176:179]
/*  mfmaIndex:216  */
v_mfma_f32_16x16x16_bf16 a[192+0:195+0], v[vgprValuB_X3_I0+24+0+0:vgprValuB_X3_I0+24+0+0+1], v[vgprValuA_X3_I0+0+0+0:vgprValuA_X3_I0+0+0+0+1], a[192:195]
/*  mfmaIndex:217  */
v_mfma_f32_16x16x16_bf16 a[196+0:199+0], v[vgprValuB_X3_I0+24+0+0:vgprValuB_X3_I0+24+0+0+1], v[vgprValuA_X3_I0+2+0+0:vgprValuA_X3_I0+2+0+0+1], a[196:199]
/*  mfmaIndex:218  */
v_mfma_f32_16x16x16_bf16 a[200+0:203+0], v[vgprValuB_X3_I0+24+0+0:vgprValuB_X3_I0+24+0+0+1], v[vgprValuA_X3_I0+4+0+0:vgprValuA_X3_I0+4+0+0+1], a[200:203]
/*  mfmaIndex:219  */
v_mfma_f32_16x16x16_bf16 a[204+0:207+0], v[vgprValuB_X3_I0+24+0+0:vgprValuB_X3_I0+24+0+0+1], v[vgprValuA_X3_I0+6+0+0:vgprValuA_X3_I0+6+0+0+1], a[204:207]
/*  mfmaIndex:220  */
v_mfma_f32_16x16x16_bf16 a[220+0:223+0], v[vgprValuB_X3_I0+26+0+0:vgprValuB_X3_I0+26+0+0+1], v[vgprValuA_X3_I0+6+0+0:vgprValuA_X3_I0+6+0+0+1], a[220:223]
/*  mfmaIndex:221  */
v_mfma_f32_16x16x16_bf16 a[216+0:219+0], v[vgprValuB_X3_I0+26+0+0:vgprValuB_X3_I0+26+0+0+1], v[vgprValuA_X3_I0+4+0+0:vgprValuA_X3_I0+4+0+0+1], a[216:219]
/*  mfmaIndex:222  */
v_mfma_f32_16x16x16_bf16 a[212+0:215+0], v[vgprValuB_X3_I0+26+0+0:vgprValuB_X3_I0+26+0+0+1], v[vgprValuA_X3_I0+2+0+0:vgprValuA_X3_I0+2+0+0+1], a[212:215]
/*  mfmaIndex:223  */
v_mfma_f32_16x16x16_bf16 a[208+0:211+0], v[vgprValuB_X3_I0+26+0+0:vgprValuB_X3_I0+26+0+0+1], v[vgprValuA_X3_I0+0+0+0:vgprValuA_X3_I0+0+0+0+1], a[208:211]
/* numPrefetchIter=0 */
/* dataAtIterA=2 numReadsIterA=3 skipReadsIterA=0 readsPerIterA=16 */
/* dataAtIterB=2 numReadsIterB=3 skipReadsIterB=0 readsPerIterB=14 */

/* Stores for OptNLL */
Summation_End_OptNLL_18:
s_setprio 0                                        // optimization store
/* endSummation: add vgpr [0...240) to pool */
.set ScalarGlobalReadOffsetA, UNDEF
.set ScalarGlobalReadOffsetB, UNDEF

/* Mapping of Acc register -> C Vgpr register */
/* computeStoreVgprs */
v_lshrrev_b32 v4, 6, v[vgprSerial]                 // v4 = v[vgprSerial] / 64
v_and_b32 v1, 63, v[vgprSerial]                    // v1 = v[vgprSerial] % 64
v_lshrrev_b32 v1, 4, v1                            // v1 = v1 / 16
v_lshlrev_b32 v1, 0x2, v1                          // thread0 * continuous_output
v_lshrrev_b32 v5, 2, v4                            // v5 = v4 / 4
v_mul_lo_u32 v5, 0x10, v5                          // wave coordination offset 1
_v_add_lshl_u32 v1, v5, v1, 0                      // coordination 1 = vwb *(wave_id1 + tid1)
v_mul_lo_u32 v2, v1, s[sgprStrideC1J]              //  offset 1
v_mul_lo_u32 v3, v1, s[sgprStrideD1J]              //  offset 1
v_and_b32 v5, 3, v4                                // v5 = v4 % 4
v_mul_lo_u32 v5, 0x10, v5                          // wave coordination offset 0
v_and_b32 v0, 15, v[vgprSerial]                    // v0 = v[vgprSerial] % 16
_v_add_lshl_u32 v0, v5, v0, 2                      // coordination 0 = vwa *(wave_id0 + tid0)
s_mul_i32 s53, 256, s[sgprWorkGroup0]              // wgp0 * MT0
_v_add_u32 v0, s53, v0                             // coord 0 = (tid0/MI_m)*4 + waveG0*MIB_m + MT0*SG0
s_mul_i32 s53, 224, s[sgprWorkGroup1]              // wgp1 * MT1
_v_add_u32 v1, s53, v1                             // coord 1 = (tid0%MI_m) + waveG1*MIB_n + MT1*SG1
GW_B0_E0_21:

/* edge=0, allocate 2 sgpr. perBatchTmpS=2 perBatchMaskS=0 perElementMaskS=0 elementsPerBatch=60 */
/* optSingleColVgpr=1 optSharedColVgpr=0 optSGPRUsage=BufferLoad_Mask optSrdIncForRow=1 */

/******************************************/
/* Global Write Batch #0 (d1,d0,vc1,vc0) = */
/*    (0,0,0,0:vw4); (0,0,1,0:vw4); (0,0,2,0:vw4); (0,0,3,0:vw4); (1,0,0,0:vw4); (1,0,1,0:vw4); (1,0,2,0:vw4); (1,0,3,0:vw4); (2,0,0,0:vw4); (2,0,1,0:vw4); (2,0,2,0:vw4); (2,0,3,0:vw4); (3,0,0,0:vw4); (3,0,1,0:vw4); (3,0,2,0:vw4); (3,0,3,0:vw4); (4,0,0,0:vw4); (4,0,1,0:vw4); (4,0,2,0:vw4); (4,0,3,0:vw4); (5,0,0,0:vw4); (5,0,1,0:vw4); (5,0,2,0:vw4); (5,0,3,0:vw4); (6,0,0,0:vw4); (6,0,1,0:vw4); (6,0,2,0:vw4); (6,0,3,0:vw4); (7,0,0,0:vw4); (7,0,1,0:vw4); (7,0,2,0:vw4); (7,0,3,0:vw4); (8,0,0,0:vw4); (8,0,1,0:vw4); (8,0,2,0:vw4); (8,0,3,0:vw4); (9,0,0,0:vw4); (9,0,1,0:vw4); (9,0,2,0:vw4); (9,0,3,0:vw4); (10,0,0,0:vw4); (10,0,1,0:vw4); (10,0,2,0:vw4); (10,0,3,0:vw4); (11,0,0,0:vw4); (11,0,1,0:vw4); (11,0,2,0:vw4); (11,0,3,0:vw4); (12,0,0,0:vw4); (12,0,1,0:vw4); (12,0,2,0:vw4); (12,0,3,0:vw4); (13,0,0,0:vw4); (13,0,1,0:vw4); (13,0,2,0:vw4); (13,0,3,0:vw4) */
/******************************************/

/* calc coords, apply mask, and issue loads (if necessary) */
/* (d1,vc1,d0,vc0)=(0,0,0,0) */
/* (d1,vc1,d0,vc0)=(0,1,0,0) */
	;; [unrolled: 1-line block ×56, first 2 shown]
_v_add_lshl_u32 v10, v3, v0, 0x1                   // optSingleColVgpr scaleToBpe: sharedAddrVgpr <- cinRowPtr + coord0, scaled by BPE. BSHERE:coord0=0, coord0Vgpr=0
v_accvgpr_read_b32 v[vgprValuC+12], acc0 // copy acc to vreg[0]
v_accvgpr_read_b32 v[vgprValuC+13], acc4 // copy acc to vreg[1]
v_accvgpr_read_b32 v[vgprValuC+14], acc8 // copy acc to vreg[2]
v_accvgpr_read_b32 v[vgprValuC+15], acc12 // copy acc to vreg[3]
v_accvgpr_read_b32 v[vgprValuC+16], acc1 // copy acc to vreg[4]
v_accvgpr_read_b32 v[vgprValuC+17], acc5 // copy acc to vreg[5]
v_accvgpr_read_b32 v[vgprValuC+18], acc9 // copy acc to vreg[6]
v_accvgpr_read_b32 v[vgprValuC+19], acc13 // copy acc to vreg[7]
v_accvgpr_read_b32 v[vgprValuC+20], acc2 // copy acc to vreg[8]
v_accvgpr_read_b32 v[vgprValuC+21], acc6 // copy acc to vreg[9]
v_accvgpr_read_b32 v[vgprValuC+22], acc10 // copy acc to vreg[10]
v_accvgpr_read_b32 v[vgprValuC+23], acc14 // copy acc to vreg[11]
v_accvgpr_read_b32 v[vgprValuC+24], acc3 // copy acc to vreg[12]
v_accvgpr_read_b32 v[vgprValuC+25], acc7 // copy acc to vreg[13]
v_accvgpr_read_b32 v[vgprValuC+26], acc11 // copy acc to vreg[14]
v_accvgpr_read_b32 v[vgprValuC+27], acc15 // copy acc to vreg[15]
v_accvgpr_read_b32 v[vgprValuC+28], acc16 // copy acc to vreg[16]
v_accvgpr_read_b32 v[vgprValuC+29], acc20 // copy acc to vreg[17]
v_accvgpr_read_b32 v[vgprValuC+30], acc24 // copy acc to vreg[18]
v_accvgpr_read_b32 v[vgprValuC+31], acc28 // copy acc to vreg[19]
v_accvgpr_read_b32 v[vgprValuC+32], acc17 // copy acc to vreg[20]
v_accvgpr_read_b32 v[vgprValuC+33], acc21 // copy acc to vreg[21]
v_accvgpr_read_b32 v[vgprValuC+34], acc25 // copy acc to vreg[22]
v_accvgpr_read_b32 v[vgprValuC+35], acc29 // copy acc to vreg[23]
v_accvgpr_read_b32 v[vgprValuC+36], acc18 // copy acc to vreg[24]
v_accvgpr_read_b32 v[vgprValuC+37], acc22 // copy acc to vreg[25]
v_accvgpr_read_b32 v[vgprValuC+38], acc26 // copy acc to vreg[26]
v_accvgpr_read_b32 v[vgprValuC+39], acc30 // copy acc to vreg[27]
v_accvgpr_read_b32 v[vgprValuC+40], acc19 // copy acc to vreg[28]
v_accvgpr_read_b32 v[vgprValuC+41], acc23 // copy acc to vreg[29]
v_accvgpr_read_b32 v[vgprValuC+42], acc27 // copy acc to vreg[30]
v_accvgpr_read_b32 v[vgprValuC+43], acc31 // copy acc to vreg[31]
v_accvgpr_read_b32 v[vgprValuC+44], acc32 // copy acc to vreg[32]
v_accvgpr_read_b32 v[vgprValuC+45], acc36 // copy acc to vreg[33]
v_accvgpr_read_b32 v[vgprValuC+46], acc40 // copy acc to vreg[34]
v_accvgpr_read_b32 v[vgprValuC+47], acc44 // copy acc to vreg[35]
v_accvgpr_read_b32 v[vgprValuC+48], acc33 // copy acc to vreg[36]
v_accvgpr_read_b32 v[vgprValuC+49], acc37 // copy acc to vreg[37]
v_accvgpr_read_b32 v[vgprValuC+50], acc41 // copy acc to vreg[38]
v_accvgpr_read_b32 v[vgprValuC+51], acc45 // copy acc to vreg[39]
v_accvgpr_read_b32 v[vgprValuC+52], acc34 // copy acc to vreg[40]
v_accvgpr_read_b32 v[vgprValuC+53], acc38 // copy acc to vreg[41]
v_accvgpr_read_b32 v[vgprValuC+54], acc42 // copy acc to vreg[42]
v_accvgpr_read_b32 v[vgprValuC+55], acc46 // copy acc to vreg[43]
v_accvgpr_read_b32 v[vgprValuC+56], acc35 // copy acc to vreg[44]
v_accvgpr_read_b32 v[vgprValuC+57], acc39 // copy acc to vreg[45]
v_accvgpr_read_b32 v[vgprValuC+58], acc43 // copy acc to vreg[46]
v_accvgpr_read_b32 v[vgprValuC+59], acc47 // copy acc to vreg[47]
v_accvgpr_read_b32 v[vgprValuC+60], acc48 // copy acc to vreg[48]
v_accvgpr_read_b32 v[vgprValuC+61], acc52 // copy acc to vreg[49]
v_accvgpr_read_b32 v[vgprValuC+62], acc56 // copy acc to vreg[50]
v_accvgpr_read_b32 v[vgprValuC+63], acc60 // copy acc to vreg[51]
v_accvgpr_read_b32 v[vgprValuC+64], acc49 // copy acc to vreg[52]
v_accvgpr_read_b32 v[vgprValuC+65], acc53 // copy acc to vreg[53]
v_accvgpr_read_b32 v[vgprValuC+66], acc57 // copy acc to vreg[54]
v_accvgpr_read_b32 v[vgprValuC+67], acc61 // copy acc to vreg[55]
v_accvgpr_read_b32 v[vgprValuC+68], acc50 // copy acc to vreg[56]
v_accvgpr_read_b32 v[vgprValuC+69], acc54 // copy acc to vreg[57]
v_accvgpr_read_b32 v[vgprValuC+70], acc58 // copy acc to vreg[58]
v_accvgpr_read_b32 v[vgprValuC+71], acc62 // copy acc to vreg[59]
v_accvgpr_read_b32 v[vgprValuC+72], acc51 // copy acc to vreg[60]
v_accvgpr_read_b32 v[vgprValuC+73], acc55 // copy acc to vreg[61]
v_accvgpr_read_b32 v[vgprValuC+74], acc59 // copy acc to vreg[62]
v_accvgpr_read_b32 v[vgprValuC+75], acc63 // copy acc to vreg[63]
v_accvgpr_read_b32 v[vgprValuC+76], acc64 // copy acc to vreg[64]
v_accvgpr_read_b32 v[vgprValuC+77], acc68 // copy acc to vreg[65]
v_accvgpr_read_b32 v[vgprValuC+78], acc72 // copy acc to vreg[66]
v_accvgpr_read_b32 v[vgprValuC+79], acc76 // copy acc to vreg[67]
v_accvgpr_read_b32 v[vgprValuC+80], acc65 // copy acc to vreg[68]
v_accvgpr_read_b32 v[vgprValuC+81], acc69 // copy acc to vreg[69]
v_accvgpr_read_b32 v[vgprValuC+82], acc73 // copy acc to vreg[70]
v_accvgpr_read_b32 v[vgprValuC+83], acc77 // copy acc to vreg[71]
v_accvgpr_read_b32 v[vgprValuC+84], acc66 // copy acc to vreg[72]
v_accvgpr_read_b32 v[vgprValuC+85], acc70 // copy acc to vreg[73]
v_accvgpr_read_b32 v[vgprValuC+86], acc74 // copy acc to vreg[74]
v_accvgpr_read_b32 v[vgprValuC+87], acc78 // copy acc to vreg[75]
v_accvgpr_read_b32 v[vgprValuC+88], acc67 // copy acc to vreg[76]
v_accvgpr_read_b32 v[vgprValuC+89], acc71 // copy acc to vreg[77]
v_accvgpr_read_b32 v[vgprValuC+90], acc75 // copy acc to vreg[78]
v_accvgpr_read_b32 v[vgprValuC+91], acc79 // copy acc to vreg[79]
v_accvgpr_read_b32 v[vgprValuC+92], acc80 // copy acc to vreg[80]
v_accvgpr_read_b32 v[vgprValuC+93], acc84 // copy acc to vreg[81]
v_accvgpr_read_b32 v[vgprValuC+94], acc88 // copy acc to vreg[82]
v_accvgpr_read_b32 v[vgprValuC+95], acc92 // copy acc to vreg[83]
v_accvgpr_read_b32 v[vgprValuC+96], acc81 // copy acc to vreg[84]
v_accvgpr_read_b32 v[vgprValuC+97], acc85 // copy acc to vreg[85]
v_accvgpr_read_b32 v[vgprValuC+98], acc89 // copy acc to vreg[86]
v_accvgpr_read_b32 v[vgprValuC+99], acc93 // copy acc to vreg[87]
v_accvgpr_read_b32 v[vgprValuC+100], acc82 // copy acc to vreg[88]
v_accvgpr_read_b32 v[vgprValuC+101], acc86 // copy acc to vreg[89]
v_accvgpr_read_b32 v[vgprValuC+102], acc90 // copy acc to vreg[90]
v_accvgpr_read_b32 v[vgprValuC+103], acc94 // copy acc to vreg[91]
v_accvgpr_read_b32 v[vgprValuC+104], acc83 // copy acc to vreg[92]
v_accvgpr_read_b32 v[vgprValuC+105], acc87 // copy acc to vreg[93]
v_accvgpr_read_b32 v[vgprValuC+106], acc91 // copy acc to vreg[94]
v_accvgpr_read_b32 v[vgprValuC+107], acc95 // copy acc to vreg[95]
v_accvgpr_read_b32 v[vgprValuC+108], acc96 // copy acc to vreg[96]
v_accvgpr_read_b32 v[vgprValuC+109], acc100 // copy acc to vreg[97]
v_accvgpr_read_b32 v[vgprValuC+110], acc104 // copy acc to vreg[98]
v_accvgpr_read_b32 v[vgprValuC+111], acc108 // copy acc to vreg[99]
v_accvgpr_read_b32 v[vgprValuC+112], acc97 // copy acc to vreg[100]
v_accvgpr_read_b32 v[vgprValuC+113], acc101 // copy acc to vreg[101]
v_accvgpr_read_b32 v[vgprValuC+114], acc105 // copy acc to vreg[102]
v_accvgpr_read_b32 v[vgprValuC+115], acc109 // copy acc to vreg[103]
v_accvgpr_read_b32 v[vgprValuC+116], acc98 // copy acc to vreg[104]
v_accvgpr_read_b32 v[vgprValuC+117], acc102 // copy acc to vreg[105]
v_accvgpr_read_b32 v[vgprValuC+118], acc106 // copy acc to vreg[106]
v_accvgpr_read_b32 v[vgprValuC+119], acc110 // copy acc to vreg[107]
v_accvgpr_read_b32 v[vgprValuC+120], acc99 // copy acc to vreg[108]
v_accvgpr_read_b32 v[vgprValuC+121], acc103 // copy acc to vreg[109]
v_accvgpr_read_b32 v[vgprValuC+122], acc107 // copy acc to vreg[110]
v_accvgpr_read_b32 v[vgprValuC+123], acc111 // copy acc to vreg[111]
v_accvgpr_read_b32 v[vgprValuC+124], acc112 // copy acc to vreg[112]
v_accvgpr_read_b32 v[vgprValuC+125], acc116 // copy acc to vreg[113]
v_accvgpr_read_b32 v[vgprValuC+126], acc120 // copy acc to vreg[114]
v_accvgpr_read_b32 v[vgprValuC+127], acc124 // copy acc to vreg[115]
v_accvgpr_read_b32 v[vgprValuC+128], acc113 // copy acc to vreg[116]
v_accvgpr_read_b32 v[vgprValuC+129], acc117 // copy acc to vreg[117]
v_accvgpr_read_b32 v[vgprValuC+130], acc121 // copy acc to vreg[118]
v_accvgpr_read_b32 v[vgprValuC+131], acc125 // copy acc to vreg[119]
v_accvgpr_read_b32 v[vgprValuC+132], acc114 // copy acc to vreg[120]
v_accvgpr_read_b32 v[vgprValuC+133], acc118 // copy acc to vreg[121]
v_accvgpr_read_b32 v[vgprValuC+134], acc122 // copy acc to vreg[122]
v_accvgpr_read_b32 v[vgprValuC+135], acc126 // copy acc to vreg[123]
v_accvgpr_read_b32 v[vgprValuC+136], acc115 // copy acc to vreg[124]
v_accvgpr_read_b32 v[vgprValuC+137], acc119 // copy acc to vreg[125]
v_accvgpr_read_b32 v[vgprValuC+138], acc123 // copy acc to vreg[126]
v_accvgpr_read_b32 v[vgprValuC+139], acc127 // copy acc to vreg[127]
v_accvgpr_read_b32 v[vgprValuC+140], acc128 // copy acc to vreg[128]
v_accvgpr_read_b32 v[vgprValuC+141], acc132 // copy acc to vreg[129]
v_accvgpr_read_b32 v[vgprValuC+142], acc136 // copy acc to vreg[130]
v_accvgpr_read_b32 v[vgprValuC+143], acc140 // copy acc to vreg[131]
v_accvgpr_read_b32 v[vgprValuC+144], acc129 // copy acc to vreg[132]
v_accvgpr_read_b32 v[vgprValuC+145], acc133 // copy acc to vreg[133]
v_accvgpr_read_b32 v[vgprValuC+146], acc137 // copy acc to vreg[134]
v_accvgpr_read_b32 v[vgprValuC+147], acc141 // copy acc to vreg[135]
v_accvgpr_read_b32 v[vgprValuC+148], acc130 // copy acc to vreg[136]
v_accvgpr_read_b32 v[vgprValuC+149], acc134 // copy acc to vreg[137]
v_accvgpr_read_b32 v[vgprValuC+150], acc138 // copy acc to vreg[138]
v_accvgpr_read_b32 v[vgprValuC+151], acc142 // copy acc to vreg[139]
v_accvgpr_read_b32 v[vgprValuC+152], acc131 // copy acc to vreg[140]
v_accvgpr_read_b32 v[vgprValuC+153], acc135 // copy acc to vreg[141]
v_accvgpr_read_b32 v[vgprValuC+154], acc139 // copy acc to vreg[142]
v_accvgpr_read_b32 v[vgprValuC+155], acc143 // copy acc to vreg[143]
v_accvgpr_read_b32 v[vgprValuC+156], acc144 // copy acc to vreg[144]
v_accvgpr_read_b32 v[vgprValuC+157], acc148 // copy acc to vreg[145]
v_accvgpr_read_b32 v[vgprValuC+158], acc152 // copy acc to vreg[146]
v_accvgpr_read_b32 v[vgprValuC+159], acc156 // copy acc to vreg[147]
v_accvgpr_read_b32 v[vgprValuC+160], acc145 // copy acc to vreg[148]
v_accvgpr_read_b32 v[vgprValuC+161], acc149 // copy acc to vreg[149]
v_accvgpr_read_b32 v[vgprValuC+162], acc153 // copy acc to vreg[150]
v_accvgpr_read_b32 v[vgprValuC+163], acc157 // copy acc to vreg[151]
v_accvgpr_read_b32 v[vgprValuC+164], acc146 // copy acc to vreg[152]
v_accvgpr_read_b32 v[vgprValuC+165], acc150 // copy acc to vreg[153]
v_accvgpr_read_b32 v[vgprValuC+166], acc154 // copy acc to vreg[154]
v_accvgpr_read_b32 v[vgprValuC+167], acc158 // copy acc to vreg[155]
v_accvgpr_read_b32 v[vgprValuC+168], acc147 // copy acc to vreg[156]
v_accvgpr_read_b32 v[vgprValuC+169], acc151 // copy acc to vreg[157]
v_accvgpr_read_b32 v[vgprValuC+170], acc155 // copy acc to vreg[158]
v_accvgpr_read_b32 v[vgprValuC+171], acc159 // copy acc to vreg[159]
v_accvgpr_read_b32 v[vgprValuC+172], acc160 // copy acc to vreg[160]
v_accvgpr_read_b32 v[vgprValuC+173], acc164 // copy acc to vreg[161]
v_accvgpr_read_b32 v[vgprValuC+174], acc168 // copy acc to vreg[162]
v_accvgpr_read_b32 v[vgprValuC+175], acc172 // copy acc to vreg[163]
v_accvgpr_read_b32 v[vgprValuC+176], acc161 // copy acc to vreg[164]
v_accvgpr_read_b32 v[vgprValuC+177], acc165 // copy acc to vreg[165]
v_accvgpr_read_b32 v[vgprValuC+178], acc169 // copy acc to vreg[166]
v_accvgpr_read_b32 v[vgprValuC+179], acc173 // copy acc to vreg[167]
v_accvgpr_read_b32 v[vgprValuC+180], acc162 // copy acc to vreg[168]
v_accvgpr_read_b32 v[vgprValuC+181], acc166 // copy acc to vreg[169]
v_accvgpr_read_b32 v[vgprValuC+182], acc170 // copy acc to vreg[170]
v_accvgpr_read_b32 v[vgprValuC+183], acc174 // copy acc to vreg[171]
v_accvgpr_read_b32 v[vgprValuC+184], acc163 // copy acc to vreg[172]
v_accvgpr_read_b32 v[vgprValuC+185], acc167 // copy acc to vreg[173]
v_accvgpr_read_b32 v[vgprValuC+186], acc171 // copy acc to vreg[174]
v_accvgpr_read_b32 v[vgprValuC+187], acc175 // copy acc to vreg[175]
v_accvgpr_read_b32 v[vgprValuC+188], acc176 // copy acc to vreg[176]
v_accvgpr_read_b32 v[vgprValuC+189], acc180 // copy acc to vreg[177]
v_accvgpr_read_b32 v[vgprValuC+190], acc184 // copy acc to vreg[178]
v_accvgpr_read_b32 v[vgprValuC+191], acc188 // copy acc to vreg[179]
v_accvgpr_read_b32 v[vgprValuC+192], acc177 // copy acc to vreg[180]
v_accvgpr_read_b32 v[vgprValuC+193], acc181 // copy acc to vreg[181]
v_accvgpr_read_b32 v[vgprValuC+194], acc185 // copy acc to vreg[182]
v_accvgpr_read_b32 v[vgprValuC+195], acc189 // copy acc to vreg[183]
v_accvgpr_read_b32 v[vgprValuC+196], acc178 // copy acc to vreg[184]
v_accvgpr_read_b32 v[vgprValuC+197], acc182 // copy acc to vreg[185]
v_accvgpr_read_b32 v[vgprValuC+198], acc186 // copy acc to vreg[186]
v_accvgpr_read_b32 v[vgprValuC+199], acc190 // copy acc to vreg[187]
v_accvgpr_read_b32 v[vgprValuC+200], acc179 // copy acc to vreg[188]
v_accvgpr_read_b32 v[vgprValuC+201], acc183 // copy acc to vreg[189]
v_accvgpr_read_b32 v[vgprValuC+202], acc187 // copy acc to vreg[190]
v_accvgpr_read_b32 v[vgprValuC+203], acc191 // copy acc to vreg[191]
v_accvgpr_read_b32 v[vgprValuC+204], acc192 // copy acc to vreg[192]
v_accvgpr_read_b32 v[vgprValuC+205], acc196 // copy acc to vreg[193]
v_accvgpr_read_b32 v[vgprValuC+206], acc200 // copy acc to vreg[194]
v_accvgpr_read_b32 v[vgprValuC+207], acc204 // copy acc to vreg[195]
v_accvgpr_read_b32 v[vgprValuC+208], acc193 // copy acc to vreg[196]
v_accvgpr_read_b32 v[vgprValuC+209], acc197 // copy acc to vreg[197]
v_accvgpr_read_b32 v[vgprValuC+210], acc201 // copy acc to vreg[198]
v_accvgpr_read_b32 v[vgprValuC+211], acc205 // copy acc to vreg[199]
v_accvgpr_read_b32 v[vgprValuC+212], acc194 // copy acc to vreg[200]
v_accvgpr_read_b32 v[vgprValuC+213], acc198 // copy acc to vreg[201]
v_accvgpr_read_b32 v[vgprValuC+214], acc202 // copy acc to vreg[202]
v_accvgpr_read_b32 v[vgprValuC+215], acc206 // copy acc to vreg[203]
v_accvgpr_read_b32 v[vgprValuC+216], acc195 // copy acc to vreg[204]
v_accvgpr_read_b32 v[vgprValuC+217], acc199 // copy acc to vreg[205]
v_accvgpr_read_b32 v[vgprValuC+218], acc203 // copy acc to vreg[206]
v_accvgpr_read_b32 v[vgprValuC+219], acc207 // copy acc to vreg[207]
v_accvgpr_read_b32 v[vgprValuC+220], acc208 // copy acc to vreg[208]
v_accvgpr_read_b32 v[vgprValuC+221], acc212 // copy acc to vreg[209]
v_accvgpr_read_b32 v[vgprValuC+222], acc216 // copy acc to vreg[210]
v_accvgpr_read_b32 v[vgprValuC+223], acc220 // copy acc to vreg[211]
v_accvgpr_read_b32 v[vgprValuC+224], acc209 // copy acc to vreg[212]
v_accvgpr_read_b32 v[vgprValuC+225], acc213 // copy acc to vreg[213]
v_accvgpr_read_b32 v[vgprValuC+226], acc217 // copy acc to vreg[214]
v_accvgpr_read_b32 v[vgprValuC+227], acc221 // copy acc to vreg[215]
v_accvgpr_read_b32 v[vgprValuC+228], acc210 // copy acc to vreg[216]
v_accvgpr_read_b32 v[vgprValuC+229], acc214 // copy acc to vreg[217]
v_accvgpr_read_b32 v[vgprValuC+230], acc218 // copy acc to vreg[218]
v_accvgpr_read_b32 v[vgprValuC+231], acc222 // copy acc to vreg[219]
v_accvgpr_read_b32 v[vgprValuC+232], acc211 // copy acc to vreg[220]
v_accvgpr_read_b32 v[vgprValuC+233], acc215 // copy acc to vreg[221]
v_accvgpr_read_b32 v[vgprValuC+234], acc219 // copy acc to vreg[222]
v_accvgpr_read_b32 v[vgprValuC+235], acc223 // copy acc to vreg[223]
s_nop 1                                            // 2 wait states required before reading vgpr

/* apply mask, calc new C and issue writes */
v_mov_b32 v7, 0xffff0000                           // mask for pack two bfloat16 element to 32bit
v_mov_b32 v8, 0x7fff0000                           // fp32 Nan
v_mov_b32 v9, 0x7fff                               // rounding bias for bfloat16
v_cmp_u_f32 s[54:55], v[vgprValuC+12], v[vgprValuC+12] // check Nan
v_bfe_u32 v6, v[vgprValuC+12], 16, 1               // Non-Nan case: store lsb of bf16
v_add3_u32 v6, v[vgprValuC+12], v6, v9             // Non-Nan case: add lsb and the increment for rounding
v_cndmask_b32 v[vgprValuC+12], v6, v8, s[54:55]    // 
v_lshrrev_b32 v[vgprValuC+12], 16, v[vgprValuC+12] // convert C to bf16
v_cmp_u_f32 s[54:55], v[vgprValuC+13], v[vgprValuC+13] // check Nan
v_bfe_u32 v6, v[vgprValuC+13], 16, 1               // Non-Nan case: store lsb of bf16
v_add3_u32 v6, v[vgprValuC+13], v6, v9             // Non-Nan case: add lsb and the increment for rounding
v_cndmask_b32 v[vgprValuC+13], v6, v8, s[54:55]    // 
v_and_or_b32 v12, v[vgprValuC+13], v7, v[vgprValuC+12] // pack two bf16 to dword
v_cmp_u_f32 s[54:55], v[vgprValuC+14], v[vgprValuC+14] // check Nan
v_bfe_u32 v6, v[vgprValuC+14], 16, 1               // Non-Nan case: store lsb of bf16
v_add3_u32 v6, v[vgprValuC+14], v6, v9             // Non-Nan case: add lsb and the increment for rounding
v_cndmask_b32 v[vgprValuC+14], v6, v8, s[54:55]    // 
v_lshrrev_b32 v[vgprValuC+14], 16, v[vgprValuC+14] // convert C to bf16
v_cmp_u_f32 s[54:55], v[vgprValuC+15], v[vgprValuC+15] // check Nan
v_bfe_u32 v6, v[vgprValuC+15], 16, 1               // Non-Nan case: store lsb of bf16
v_add3_u32 v6, v[vgprValuC+15], v6, v9             // Non-Nan case: add lsb and the increment for rounding
v_cndmask_b32 v[vgprValuC+15], v6, v8, s[54:55]    // 
v_and_or_b32 v13, v[vgprValuC+15], v7, v[vgprValuC+14] // pack two bf16 to dword
_buffer_store_b64 v[12:13], v10, s[sgprSrdD:sgprSrdD+3], 0, offen, offset:0,  sc0 sc1 // store D
v_cmp_u_f32 s[54:55], v[vgprValuC+16], v[vgprValuC+16] // check Nan
v_bfe_u32 v6, v[vgprValuC+16], 16, 1               // Non-Nan case: store lsb of bf16
v_add3_u32 v6, v[vgprValuC+16], v6, v9             // Non-Nan case: add lsb and the increment for rounding
v_cndmask_b32 v[vgprValuC+16], v6, v8, s[54:55]    // 
v_lshrrev_b32 v[vgprValuC+16], 16, v[vgprValuC+16] // convert C to bf16
v_cmp_u_f32 s[54:55], v[vgprValuC+17], v[vgprValuC+17] // check Nan
v_bfe_u32 v6, v[vgprValuC+17], 16, 1               // Non-Nan case: store lsb of bf16
v_add3_u32 v6, v[vgprValuC+17], v6, v9             // Non-Nan case: add lsb and the increment for rounding
v_cndmask_b32 v[vgprValuC+17], v6, v8, s[54:55]    // 
v_and_or_b32 v16, v[vgprValuC+17], v7, v[vgprValuC+16] // pack two bf16 to dword
v_cmp_u_f32 s[54:55], v[vgprValuC+18], v[vgprValuC+18] // check Nan
v_bfe_u32 v6, v[vgprValuC+18], 16, 1               // Non-Nan case: store lsb of bf16
v_add3_u32 v6, v[vgprValuC+18], v6, v9             // Non-Nan case: add lsb and the increment for rounding
v_cndmask_b32 v[vgprValuC+18], v6, v8, s[54:55]    // 
v_lshrrev_b32 v[vgprValuC+18], 16, v[vgprValuC+18] // convert C to bf16
v_cmp_u_f32 s[54:55], v[vgprValuC+19], v[vgprValuC+19] // check Nan
v_bfe_u32 v6, v[vgprValuC+19], 16, 1               // Non-Nan case: store lsb of bf16
v_add3_u32 v6, v[vgprValuC+19], v6, v9             // Non-Nan case: add lsb and the increment for rounding
v_cndmask_b32 v[vgprValuC+19], v6, v8, s[54:55]    // 
v_and_or_b32 v17, v[vgprValuC+19], v7, v[vgprValuC+18] // pack two bf16 to dword
s_lshl_b32  s54, s[sgprStrideD1J], 1               // incToNextRow: Scale by BPE
s_add_u32  s[sgprSrdD+0], s[sgprSrdD+0], s54       // incToNextRow: gra SRD += inc(lower)
s_addc_u32  s[sgprSrdD+1], s[sgprSrdD+1], 0        // incToNextRow: gra SRD += inc(upper)
_buffer_store_b64 v[16:17], v10, s[sgprSrdD:sgprSrdD+3], 0, offen, offset:0,  sc0 sc1 // store D
v_cmp_u_f32 s[54:55], v[vgprValuC+20], v[vgprValuC+20] // check Nan
v_bfe_u32 v6, v[vgprValuC+20], 16, 1               // Non-Nan case: store lsb of bf16
v_add3_u32 v6, v[vgprValuC+20], v6, v9             // Non-Nan case: add lsb and the increment for rounding
v_cndmask_b32 v[vgprValuC+20], v6, v8, s[54:55]    // 
v_lshrrev_b32 v[vgprValuC+20], 16, v[vgprValuC+20] // convert C to bf16
v_cmp_u_f32 s[54:55], v[vgprValuC+21], v[vgprValuC+21] // check Nan
v_bfe_u32 v6, v[vgprValuC+21], 16, 1               // Non-Nan case: store lsb of bf16
v_add3_u32 v6, v[vgprValuC+21], v6, v9             // Non-Nan case: add lsb and the increment for rounding
v_cndmask_b32 v[vgprValuC+21], v6, v8, s[54:55]    // 
v_and_or_b32 v20, v[vgprValuC+21], v7, v[vgprValuC+20] // pack two bf16 to dword
v_cmp_u_f32 s[54:55], v[vgprValuC+22], v[vgprValuC+22] // check Nan
v_bfe_u32 v6, v[vgprValuC+22], 16, 1               // Non-Nan case: store lsb of bf16
v_add3_u32 v6, v[vgprValuC+22], v6, v9             // Non-Nan case: add lsb and the increment for rounding
v_cndmask_b32 v[vgprValuC+22], v6, v8, s[54:55]    // 
v_lshrrev_b32 v[vgprValuC+22], 16, v[vgprValuC+22] // convert C to bf16
v_cmp_u_f32 s[54:55], v[vgprValuC+23], v[vgprValuC+23] // check Nan
v_bfe_u32 v6, v[vgprValuC+23], 16, 1               // Non-Nan case: store lsb of bf16
v_add3_u32 v6, v[vgprValuC+23], v6, v9             // Non-Nan case: add lsb and the increment for rounding
v_cndmask_b32 v[vgprValuC+23], v6, v8, s[54:55]    // 
v_and_or_b32 v21, v[vgprValuC+23], v7, v[vgprValuC+22] // pack two bf16 to dword
s_lshl_b32  s54, s[sgprStrideD1J], 1               // incToNextRow: Scale by BPE
s_add_u32  s[sgprSrdD+0], s[sgprSrdD+0], s54       // incToNextRow: gra SRD += inc(lower)
s_addc_u32  s[sgprSrdD+1], s[sgprSrdD+1], 0        // incToNextRow: gra SRD += inc(upper)
	;; [unrolled: 24-line block ×3, first 2 shown]
_buffer_store_b64 v[24:25], v10, s[sgprSrdD:sgprSrdD+3], 0, offen, offset:0,  sc0 sc1 // store D
v_cmp_u_f32 s[54:55], v[vgprValuC+28], v[vgprValuC+28] // check Nan
v_bfe_u32 v6, v[vgprValuC+28], 16, 1               // Non-Nan case: store lsb of bf16
v_add3_u32 v6, v[vgprValuC+28], v6, v9             // Non-Nan case: add lsb and the increment for rounding
v_cndmask_b32 v[vgprValuC+28], v6, v8, s[54:55]    // 
v_lshrrev_b32 v[vgprValuC+28], 16, v[vgprValuC+28] // convert C to bf16
v_cmp_u_f32 s[54:55], v[vgprValuC+29], v[vgprValuC+29] // check Nan
v_bfe_u32 v6, v[vgprValuC+29], 16, 1               // Non-Nan case: store lsb of bf16
v_add3_u32 v6, v[vgprValuC+29], v6, v9             // Non-Nan case: add lsb and the increment for rounding
v_cndmask_b32 v[vgprValuC+29], v6, v8, s[54:55]    // 
v_and_or_b32 v28, v[vgprValuC+29], v7, v[vgprValuC+28] // pack two bf16 to dword
v_cmp_u_f32 s[54:55], v[vgprValuC+30], v[vgprValuC+30] // check Nan
v_bfe_u32 v6, v[vgprValuC+30], 16, 1               // Non-Nan case: store lsb of bf16
v_add3_u32 v6, v[vgprValuC+30], v6, v9             // Non-Nan case: add lsb and the increment for rounding
v_cndmask_b32 v[vgprValuC+30], v6, v8, s[54:55]    // 
v_lshrrev_b32 v[vgprValuC+30], 16, v[vgprValuC+30] // convert C to bf16
v_cmp_u_f32 s[54:55], v[vgprValuC+31], v[vgprValuC+31] // check Nan
v_bfe_u32 v6, v[vgprValuC+31], 16, 1               // Non-Nan case: store lsb of bf16
v_add3_u32 v6, v[vgprValuC+31], v6, v9             // Non-Nan case: add lsb and the increment for rounding
v_cndmask_b32 v[vgprValuC+31], v6, v8, s[54:55]    // 
v_and_or_b32 v29, v[vgprValuC+31], v7, v[vgprValuC+30] // pack two bf16 to dword
s_mul_i32 s54, s[sgprStrideD1J], 26                // scale StrideD *= numRows(13) * bpe
s_add_u32  s[sgprSrdD+0], s[sgprSrdD+0], s54       // incToNextRow: gra SRD += inc(lower)
s_addc_u32  s[sgprSrdD+1], s[sgprSrdD+1], 0        // incToNextRow: gra SRD += inc(upper)
_buffer_store_b64 v[28:29], v10, s[sgprSrdD:sgprSrdD+3], 0, offen, offset:0,  sc0 sc1 // store D
v_cmp_u_f32 s[54:55], v[vgprValuC+32], v[vgprValuC+32] // check Nan
v_bfe_u32 v6, v[vgprValuC+32], 16, 1               // Non-Nan case: store lsb of bf16
v_add3_u32 v6, v[vgprValuC+32], v6, v9             // Non-Nan case: add lsb and the increment for rounding
v_cndmask_b32 v[vgprValuC+32], v6, v8, s[54:55]    // 
v_lshrrev_b32 v[vgprValuC+32], 16, v[vgprValuC+32] // convert C to bf16
v_cmp_u_f32 s[54:55], v[vgprValuC+33], v[vgprValuC+33] // check Nan
v_bfe_u32 v6, v[vgprValuC+33], 16, 1               // Non-Nan case: store lsb of bf16
v_add3_u32 v6, v[vgprValuC+33], v6, v9             // Non-Nan case: add lsb and the increment for rounding
v_cndmask_b32 v[vgprValuC+33], v6, v8, s[54:55]    // 
v_and_or_b32 v32, v[vgprValuC+33], v7, v[vgprValuC+32] // pack two bf16 to dword
v_cmp_u_f32 s[54:55], v[vgprValuC+34], v[vgprValuC+34] // check Nan
v_bfe_u32 v6, v[vgprValuC+34], 16, 1               // Non-Nan case: store lsb of bf16
v_add3_u32 v6, v[vgprValuC+34], v6, v9             // Non-Nan case: add lsb and the increment for rounding
v_cndmask_b32 v[vgprValuC+34], v6, v8, s[54:55]    // 
v_lshrrev_b32 v[vgprValuC+34], 16, v[vgprValuC+34] // convert C to bf16
v_cmp_u_f32 s[54:55], v[vgprValuC+35], v[vgprValuC+35] // check Nan
v_bfe_u32 v6, v[vgprValuC+35], 16, 1               // Non-Nan case: store lsb of bf16
v_add3_u32 v6, v[vgprValuC+35], v6, v9             // Non-Nan case: add lsb and the increment for rounding
v_cndmask_b32 v[vgprValuC+35], v6, v8, s[54:55]    // 
v_and_or_b32 v33, v[vgprValuC+35], v7, v[vgprValuC+34] // pack two bf16 to dword
s_lshl_b32  s54, s[sgprStrideD1J], 1               // incToNextRow: Scale by BPE
s_add_u32  s[sgprSrdD+0], s[sgprSrdD+0], s54       // incToNextRow: gra SRD += inc(lower)
s_addc_u32  s[sgprSrdD+1], s[sgprSrdD+1], 0        // incToNextRow: gra SRD += inc(upper)
_buffer_store_b64 v[32:33], v10, s[sgprSrdD:sgprSrdD+3], 0, offen, offset:0,  sc0 sc1 // store D
v_cmp_u_f32 s[54:55], v[vgprValuC+36], v[vgprValuC+36] // check Nan
v_bfe_u32 v6, v[vgprValuC+36], 16, 1               // Non-Nan case: store lsb of bf16
v_add3_u32 v6, v[vgprValuC+36], v6, v9             // Non-Nan case: add lsb and the increment for rounding
v_cndmask_b32 v[vgprValuC+36], v6, v8, s[54:55]    // 
v_lshrrev_b32 v[vgprValuC+36], 16, v[vgprValuC+36] // convert C to bf16
v_cmp_u_f32 s[54:55], v[vgprValuC+37], v[vgprValuC+37] // check Nan
v_bfe_u32 v6, v[vgprValuC+37], 16, 1               // Non-Nan case: store lsb of bf16
v_add3_u32 v6, v[vgprValuC+37], v6, v9             // Non-Nan case: add lsb and the increment for rounding
v_cndmask_b32 v[vgprValuC+37], v6, v8, s[54:55]    // 
v_and_or_b32 v36, v[vgprValuC+37], v7, v[vgprValuC+36] // pack two bf16 to dword
v_cmp_u_f32 s[54:55], v[vgprValuC+38], v[vgprValuC+38] // check Nan
v_bfe_u32 v6, v[vgprValuC+38], 16, 1               // Non-Nan case: store lsb of bf16
v_add3_u32 v6, v[vgprValuC+38], v6, v9             // Non-Nan case: add lsb and the increment for rounding
v_cndmask_b32 v[vgprValuC+38], v6, v8, s[54:55]    // 
v_lshrrev_b32 v[vgprValuC+38], 16, v[vgprValuC+38] // convert C to bf16
v_cmp_u_f32 s[54:55], v[vgprValuC+39], v[vgprValuC+39] // check Nan
v_bfe_u32 v6, v[vgprValuC+39], 16, 1               // Non-Nan case: store lsb of bf16
v_add3_u32 v6, v[vgprValuC+39], v6, v9             // Non-Nan case: add lsb and the increment for rounding
v_cndmask_b32 v[vgprValuC+39], v6, v8, s[54:55]    // 
v_and_or_b32 v37, v[vgprValuC+39], v7, v[vgprValuC+38] // pack two bf16 to dword
s_lshl_b32  s54, s[sgprStrideD1J], 1               // incToNextRow: Scale by BPE
	;; [unrolled: 24-line block ×3, first 2 shown]
s_add_u32  s[sgprSrdD+0], s[sgprSrdD+0], s54       // incToNextRow: gra SRD += inc(lower)
s_addc_u32  s[sgprSrdD+1], s[sgprSrdD+1], 0        // incToNextRow: gra SRD += inc(upper)
_buffer_store_b64 v[40:41], v10, s[sgprSrdD:sgprSrdD+3], 0, offen, offset:0,  sc0 sc1 // store D
v_cmp_u_f32 s[54:55], v[vgprValuC+44], v[vgprValuC+44] // check Nan
v_bfe_u32 v6, v[vgprValuC+44], 16, 1               // Non-Nan case: store lsb of bf16
v_add3_u32 v6, v[vgprValuC+44], v6, v9             // Non-Nan case: add lsb and the increment for rounding
v_cndmask_b32 v[vgprValuC+44], v6, v8, s[54:55]    // 
v_lshrrev_b32 v[vgprValuC+44], 16, v[vgprValuC+44] // convert C to bf16
v_cmp_u_f32 s[54:55], v[vgprValuC+45], v[vgprValuC+45] // check Nan
v_bfe_u32 v6, v[vgprValuC+45], 16, 1               // Non-Nan case: store lsb of bf16
v_add3_u32 v6, v[vgprValuC+45], v6, v9             // Non-Nan case: add lsb and the increment for rounding
v_cndmask_b32 v[vgprValuC+45], v6, v8, s[54:55]    // 
v_and_or_b32 v44, v[vgprValuC+45], v7, v[vgprValuC+44] // pack two bf16 to dword
v_cmp_u_f32 s[54:55], v[vgprValuC+46], v[vgprValuC+46] // check Nan
v_bfe_u32 v6, v[vgprValuC+46], 16, 1               // Non-Nan case: store lsb of bf16
v_add3_u32 v6, v[vgprValuC+46], v6, v9             // Non-Nan case: add lsb and the increment for rounding
v_cndmask_b32 v[vgprValuC+46], v6, v8, s[54:55]    // 
v_lshrrev_b32 v[vgprValuC+46], 16, v[vgprValuC+46] // convert C to bf16
v_cmp_u_f32 s[54:55], v[vgprValuC+47], v[vgprValuC+47] // check Nan
v_bfe_u32 v6, v[vgprValuC+47], 16, 1               // Non-Nan case: store lsb of bf16
v_add3_u32 v6, v[vgprValuC+47], v6, v9             // Non-Nan case: add lsb and the increment for rounding
v_cndmask_b32 v[vgprValuC+47], v6, v8, s[54:55]    // 
v_and_or_b32 v45, v[vgprValuC+47], v7, v[vgprValuC+46] // pack two bf16 to dword
s_mul_i32 s54, s[sgprStrideD1J], 26                // scale StrideD *= numRows(13) * bpe
s_add_u32  s[sgprSrdD+0], s[sgprSrdD+0], s54       // incToNextRow: gra SRD += inc(lower)
s_addc_u32  s[sgprSrdD+1], s[sgprSrdD+1], 0        // incToNextRow: gra SRD += inc(upper)
_buffer_store_b64 v[44:45], v10, s[sgprSrdD:sgprSrdD+3], 0, offen, offset:0,  sc0 sc1 // store D
v_cmp_u_f32 s[54:55], v[vgprValuC+48], v[vgprValuC+48] // check Nan
v_bfe_u32 v6, v[vgprValuC+48], 16, 1               // Non-Nan case: store lsb of bf16
v_add3_u32 v6, v[vgprValuC+48], v6, v9             // Non-Nan case: add lsb and the increment for rounding
v_cndmask_b32 v[vgprValuC+48], v6, v8, s[54:55]    // 
v_lshrrev_b32 v[vgprValuC+48], 16, v[vgprValuC+48] // convert C to bf16
v_cmp_u_f32 s[54:55], v[vgprValuC+49], v[vgprValuC+49] // check Nan
v_bfe_u32 v6, v[vgprValuC+49], 16, 1               // Non-Nan case: store lsb of bf16
v_add3_u32 v6, v[vgprValuC+49], v6, v9             // Non-Nan case: add lsb and the increment for rounding
v_cndmask_b32 v[vgprValuC+49], v6, v8, s[54:55]    // 
v_and_or_b32 v48, v[vgprValuC+49], v7, v[vgprValuC+48] // pack two bf16 to dword
v_cmp_u_f32 s[54:55], v[vgprValuC+50], v[vgprValuC+50] // check Nan
v_bfe_u32 v6, v[vgprValuC+50], 16, 1               // Non-Nan case: store lsb of bf16
v_add3_u32 v6, v[vgprValuC+50], v6, v9             // Non-Nan case: add lsb and the increment for rounding
v_cndmask_b32 v[vgprValuC+50], v6, v8, s[54:55]    // 
v_lshrrev_b32 v[vgprValuC+50], 16, v[vgprValuC+50] // convert C to bf16
v_cmp_u_f32 s[54:55], v[vgprValuC+51], v[vgprValuC+51] // check Nan
v_bfe_u32 v6, v[vgprValuC+51], 16, 1               // Non-Nan case: store lsb of bf16
v_add3_u32 v6, v[vgprValuC+51], v6, v9             // Non-Nan case: add lsb and the increment for rounding
v_cndmask_b32 v[vgprValuC+51], v6, v8, s[54:55]    // 
v_and_or_b32 v49, v[vgprValuC+51], v7, v[vgprValuC+50] // pack two bf16 to dword
s_lshl_b32  s54, s[sgprStrideD1J], 1               // incToNextRow: Scale by BPE
s_add_u32  s[sgprSrdD+0], s[sgprSrdD+0], s54       // incToNextRow: gra SRD += inc(lower)
s_addc_u32  s[sgprSrdD+1], s[sgprSrdD+1], 0        // incToNextRow: gra SRD += inc(upper)
_buffer_store_b64 v[48:49], v10, s[sgprSrdD:sgprSrdD+3], 0, offen, offset:0,  sc0 sc1 // store D
v_cmp_u_f32 s[54:55], v[vgprValuC+52], v[vgprValuC+52] // check Nan
v_bfe_u32 v6, v[vgprValuC+52], 16, 1               // Non-Nan case: store lsb of bf16
v_add3_u32 v6, v[vgprValuC+52], v6, v9             // Non-Nan case: add lsb and the increment for rounding
v_cndmask_b32 v[vgprValuC+52], v6, v8, s[54:55]    // 
v_lshrrev_b32 v[vgprValuC+52], 16, v[vgprValuC+52] // convert C to bf16
v_cmp_u_f32 s[54:55], v[vgprValuC+53], v[vgprValuC+53] // check Nan
v_bfe_u32 v6, v[vgprValuC+53], 16, 1               // Non-Nan case: store lsb of bf16
v_add3_u32 v6, v[vgprValuC+53], v6, v9             // Non-Nan case: add lsb and the increment for rounding
v_cndmask_b32 v[vgprValuC+53], v6, v8, s[54:55]    // 
v_and_or_b32 v52, v[vgprValuC+53], v7, v[vgprValuC+52] // pack two bf16 to dword
v_cmp_u_f32 s[54:55], v[vgprValuC+54], v[vgprValuC+54] // check Nan
v_bfe_u32 v6, v[vgprValuC+54], 16, 1               // Non-Nan case: store lsb of bf16
v_add3_u32 v6, v[vgprValuC+54], v6, v9             // Non-Nan case: add lsb and the increment for rounding
v_cndmask_b32 v[vgprValuC+54], v6, v8, s[54:55]    // 
v_lshrrev_b32 v[vgprValuC+54], 16, v[vgprValuC+54] // convert C to bf16
v_cmp_u_f32 s[54:55], v[vgprValuC+55], v[vgprValuC+55] // check Nan
v_bfe_u32 v6, v[vgprValuC+55], 16, 1               // Non-Nan case: store lsb of bf16
v_add3_u32 v6, v[vgprValuC+55], v6, v9             // Non-Nan case: add lsb and the increment for rounding
v_cndmask_b32 v[vgprValuC+55], v6, v8, s[54:55]    // 
v_and_or_b32 v53, v[vgprValuC+55], v7, v[vgprValuC+54] // pack two bf16 to dword
s_lshl_b32  s54, s[sgprStrideD1J], 1               // incToNextRow: Scale by BPE
	;; [unrolled: 24-line block ×3, first 2 shown]
s_add_u32  s[sgprSrdD+0], s[sgprSrdD+0], s54       // incToNextRow: gra SRD += inc(lower)
s_addc_u32  s[sgprSrdD+1], s[sgprSrdD+1], 0        // incToNextRow: gra SRD += inc(upper)
_buffer_store_b64 v[56:57], v10, s[sgprSrdD:sgprSrdD+3], 0, offen, offset:0,  sc0 sc1 // store D
v_cmp_u_f32 s[54:55], v[vgprValuC+60], v[vgprValuC+60] // check Nan
v_bfe_u32 v6, v[vgprValuC+60], 16, 1               // Non-Nan case: store lsb of bf16
v_add3_u32 v6, v[vgprValuC+60], v6, v9             // Non-Nan case: add lsb and the increment for rounding
v_cndmask_b32 v[vgprValuC+60], v6, v8, s[54:55]    // 
v_lshrrev_b32 v[vgprValuC+60], 16, v[vgprValuC+60] // convert C to bf16
v_cmp_u_f32 s[54:55], v[vgprValuC+61], v[vgprValuC+61] // check Nan
v_bfe_u32 v6, v[vgprValuC+61], 16, 1               // Non-Nan case: store lsb of bf16
v_add3_u32 v6, v[vgprValuC+61], v6, v9             // Non-Nan case: add lsb and the increment for rounding
v_cndmask_b32 v[vgprValuC+61], v6, v8, s[54:55]    // 
v_and_or_b32 v60, v[vgprValuC+61], v7, v[vgprValuC+60] // pack two bf16 to dword
v_cmp_u_f32 s[54:55], v[vgprValuC+62], v[vgprValuC+62] // check Nan
v_bfe_u32 v6, v[vgprValuC+62], 16, 1               // Non-Nan case: store lsb of bf16
v_add3_u32 v6, v[vgprValuC+62], v6, v9             // Non-Nan case: add lsb and the increment for rounding
v_cndmask_b32 v[vgprValuC+62], v6, v8, s[54:55]    // 
v_lshrrev_b32 v[vgprValuC+62], 16, v[vgprValuC+62] // convert C to bf16
v_cmp_u_f32 s[54:55], v[vgprValuC+63], v[vgprValuC+63] // check Nan
v_bfe_u32 v6, v[vgprValuC+63], 16, 1               // Non-Nan case: store lsb of bf16
v_add3_u32 v6, v[vgprValuC+63], v6, v9             // Non-Nan case: add lsb and the increment for rounding
v_cndmask_b32 v[vgprValuC+63], v6, v8, s[54:55]    // 
v_and_or_b32 v61, v[vgprValuC+63], v7, v[vgprValuC+62] // pack two bf16 to dword
s_mul_i32 s54, s[sgprStrideD1J], 26                // scale StrideD *= numRows(13) * bpe
s_add_u32  s[sgprSrdD+0], s[sgprSrdD+0], s54       // incToNextRow: gra SRD += inc(lower)
s_addc_u32  s[sgprSrdD+1], s[sgprSrdD+1], 0        // incToNextRow: gra SRD += inc(upper)
_buffer_store_b64 v[60:61], v10, s[sgprSrdD:sgprSrdD+3], 0, offen, offset:0,  sc0 sc1 // store D
v_cmp_u_f32 s[54:55], v[vgprValuC+64], v[vgprValuC+64] // check Nan
v_bfe_u32 v6, v[vgprValuC+64], 16, 1               // Non-Nan case: store lsb of bf16
v_add3_u32 v6, v[vgprValuC+64], v6, v9             // Non-Nan case: add lsb and the increment for rounding
v_cndmask_b32 v[vgprValuC+64], v6, v8, s[54:55]    // 
v_lshrrev_b32 v[vgprValuC+64], 16, v[vgprValuC+64] // convert C to bf16
v_cmp_u_f32 s[54:55], v[vgprValuC+65], v[vgprValuC+65] // check Nan
v_bfe_u32 v6, v[vgprValuC+65], 16, 1               // Non-Nan case: store lsb of bf16
v_add3_u32 v6, v[vgprValuC+65], v6, v9             // Non-Nan case: add lsb and the increment for rounding
v_cndmask_b32 v[vgprValuC+65], v6, v8, s[54:55]    // 
v_and_or_b32 v64, v[vgprValuC+65], v7, v[vgprValuC+64] // pack two bf16 to dword
v_cmp_u_f32 s[54:55], v[vgprValuC+66], v[vgprValuC+66] // check Nan
v_bfe_u32 v6, v[vgprValuC+66], 16, 1               // Non-Nan case: store lsb of bf16
v_add3_u32 v6, v[vgprValuC+66], v6, v9             // Non-Nan case: add lsb and the increment for rounding
v_cndmask_b32 v[vgprValuC+66], v6, v8, s[54:55]    // 
v_lshrrev_b32 v[vgprValuC+66], 16, v[vgprValuC+66] // convert C to bf16
v_cmp_u_f32 s[54:55], v[vgprValuC+67], v[vgprValuC+67] // check Nan
v_bfe_u32 v6, v[vgprValuC+67], 16, 1               // Non-Nan case: store lsb of bf16
v_add3_u32 v6, v[vgprValuC+67], v6, v9             // Non-Nan case: add lsb and the increment for rounding
v_cndmask_b32 v[vgprValuC+67], v6, v8, s[54:55]    // 
v_and_or_b32 v65, v[vgprValuC+67], v7, v[vgprValuC+66] // pack two bf16 to dword
s_lshl_b32  s54, s[sgprStrideD1J], 1               // incToNextRow: Scale by BPE
s_add_u32  s[sgprSrdD+0], s[sgprSrdD+0], s54       // incToNextRow: gra SRD += inc(lower)
s_addc_u32  s[sgprSrdD+1], s[sgprSrdD+1], 0        // incToNextRow: gra SRD += inc(upper)
_buffer_store_b64 v[64:65], v10, s[sgprSrdD:sgprSrdD+3], 0, offen, offset:0,  sc0 sc1 // store D
v_cmp_u_f32 s[54:55], v[vgprValuC+68], v[vgprValuC+68] // check Nan
v_bfe_u32 v6, v[vgprValuC+68], 16, 1               // Non-Nan case: store lsb of bf16
v_add3_u32 v6, v[vgprValuC+68], v6, v9             // Non-Nan case: add lsb and the increment for rounding
v_cndmask_b32 v[vgprValuC+68], v6, v8, s[54:55]    // 
v_lshrrev_b32 v[vgprValuC+68], 16, v[vgprValuC+68] // convert C to bf16
v_cmp_u_f32 s[54:55], v[vgprValuC+69], v[vgprValuC+69] // check Nan
v_bfe_u32 v6, v[vgprValuC+69], 16, 1               // Non-Nan case: store lsb of bf16
v_add3_u32 v6, v[vgprValuC+69], v6, v9             // Non-Nan case: add lsb and the increment for rounding
v_cndmask_b32 v[vgprValuC+69], v6, v8, s[54:55]    // 
v_and_or_b32 v68, v[vgprValuC+69], v7, v[vgprValuC+68] // pack two bf16 to dword
v_cmp_u_f32 s[54:55], v[vgprValuC+70], v[vgprValuC+70] // check Nan
v_bfe_u32 v6, v[vgprValuC+70], 16, 1               // Non-Nan case: store lsb of bf16
v_add3_u32 v6, v[vgprValuC+70], v6, v9             // Non-Nan case: add lsb and the increment for rounding
v_cndmask_b32 v[vgprValuC+70], v6, v8, s[54:55]    // 
v_lshrrev_b32 v[vgprValuC+70], 16, v[vgprValuC+70] // convert C to bf16
v_cmp_u_f32 s[54:55], v[vgprValuC+71], v[vgprValuC+71] // check Nan
v_bfe_u32 v6, v[vgprValuC+71], 16, 1               // Non-Nan case: store lsb of bf16
v_add3_u32 v6, v[vgprValuC+71], v6, v9             // Non-Nan case: add lsb and the increment for rounding
v_cndmask_b32 v[vgprValuC+71], v6, v8, s[54:55]    // 
v_and_or_b32 v69, v[vgprValuC+71], v7, v[vgprValuC+70] // pack two bf16 to dword
s_lshl_b32  s54, s[sgprStrideD1J], 1               // incToNextRow: Scale by BPE
	;; [unrolled: 24-line block ×3, first 2 shown]
s_add_u32  s[sgprSrdD+0], s[sgprSrdD+0], s54       // incToNextRow: gra SRD += inc(lower)
s_addc_u32  s[sgprSrdD+1], s[sgprSrdD+1], 0        // incToNextRow: gra SRD += inc(upper)
_buffer_store_b64 v[72:73], v10, s[sgprSrdD:sgprSrdD+3], 0, offen, offset:0,  sc0 sc1 // store D
v_cmp_u_f32 s[54:55], v[vgprValuC+76], v[vgprValuC+76] // check Nan
v_bfe_u32 v6, v[vgprValuC+76], 16, 1               // Non-Nan case: store lsb of bf16
v_add3_u32 v6, v[vgprValuC+76], v6, v9             // Non-Nan case: add lsb and the increment for rounding
v_cndmask_b32 v[vgprValuC+76], v6, v8, s[54:55]    // 
v_lshrrev_b32 v[vgprValuC+76], 16, v[vgprValuC+76] // convert C to bf16
v_cmp_u_f32 s[54:55], v[vgprValuC+77], v[vgprValuC+77] // check Nan
v_bfe_u32 v6, v[vgprValuC+77], 16, 1               // Non-Nan case: store lsb of bf16
v_add3_u32 v6, v[vgprValuC+77], v6, v9             // Non-Nan case: add lsb and the increment for rounding
v_cndmask_b32 v[vgprValuC+77], v6, v8, s[54:55]    // 
v_and_or_b32 v76, v[vgprValuC+77], v7, v[vgprValuC+76] // pack two bf16 to dword
v_cmp_u_f32 s[54:55], v[vgprValuC+78], v[vgprValuC+78] // check Nan
v_bfe_u32 v6, v[vgprValuC+78], 16, 1               // Non-Nan case: store lsb of bf16
v_add3_u32 v6, v[vgprValuC+78], v6, v9             // Non-Nan case: add lsb and the increment for rounding
v_cndmask_b32 v[vgprValuC+78], v6, v8, s[54:55]    // 
v_lshrrev_b32 v[vgprValuC+78], 16, v[vgprValuC+78] // convert C to bf16
v_cmp_u_f32 s[54:55], v[vgprValuC+79], v[vgprValuC+79] // check Nan
v_bfe_u32 v6, v[vgprValuC+79], 16, 1               // Non-Nan case: store lsb of bf16
v_add3_u32 v6, v[vgprValuC+79], v6, v9             // Non-Nan case: add lsb and the increment for rounding
v_cndmask_b32 v[vgprValuC+79], v6, v8, s[54:55]    // 
v_and_or_b32 v77, v[vgprValuC+79], v7, v[vgprValuC+78] // pack two bf16 to dword
s_mul_i32 s54, s[sgprStrideD1J], 26                // scale StrideD *= numRows(13) * bpe
s_add_u32  s[sgprSrdD+0], s[sgprSrdD+0], s54       // incToNextRow: gra SRD += inc(lower)
s_addc_u32  s[sgprSrdD+1], s[sgprSrdD+1], 0        // incToNextRow: gra SRD += inc(upper)
_buffer_store_b64 v[76:77], v10, s[sgprSrdD:sgprSrdD+3], 0, offen, offset:0,  sc0 sc1 // store D
v_cmp_u_f32 s[54:55], v[vgprValuC+80], v[vgprValuC+80] // check Nan
v_bfe_u32 v6, v[vgprValuC+80], 16, 1               // Non-Nan case: store lsb of bf16
v_add3_u32 v6, v[vgprValuC+80], v6, v9             // Non-Nan case: add lsb and the increment for rounding
v_cndmask_b32 v[vgprValuC+80], v6, v8, s[54:55]    // 
v_lshrrev_b32 v[vgprValuC+80], 16, v[vgprValuC+80] // convert C to bf16
v_cmp_u_f32 s[54:55], v[vgprValuC+81], v[vgprValuC+81] // check Nan
v_bfe_u32 v6, v[vgprValuC+81], 16, 1               // Non-Nan case: store lsb of bf16
v_add3_u32 v6, v[vgprValuC+81], v6, v9             // Non-Nan case: add lsb and the increment for rounding
v_cndmask_b32 v[vgprValuC+81], v6, v8, s[54:55]    // 
v_and_or_b32 v80, v[vgprValuC+81], v7, v[vgprValuC+80] // pack two bf16 to dword
v_cmp_u_f32 s[54:55], v[vgprValuC+82], v[vgprValuC+82] // check Nan
v_bfe_u32 v6, v[vgprValuC+82], 16, 1               // Non-Nan case: store lsb of bf16
v_add3_u32 v6, v[vgprValuC+82], v6, v9             // Non-Nan case: add lsb and the increment for rounding
v_cndmask_b32 v[vgprValuC+82], v6, v8, s[54:55]    // 
v_lshrrev_b32 v[vgprValuC+82], 16, v[vgprValuC+82] // convert C to bf16
v_cmp_u_f32 s[54:55], v[vgprValuC+83], v[vgprValuC+83] // check Nan
v_bfe_u32 v6, v[vgprValuC+83], 16, 1               // Non-Nan case: store lsb of bf16
v_add3_u32 v6, v[vgprValuC+83], v6, v9             // Non-Nan case: add lsb and the increment for rounding
v_cndmask_b32 v[vgprValuC+83], v6, v8, s[54:55]    // 
v_and_or_b32 v81, v[vgprValuC+83], v7, v[vgprValuC+82] // pack two bf16 to dword
s_lshl_b32  s54, s[sgprStrideD1J], 1               // incToNextRow: Scale by BPE
s_add_u32  s[sgprSrdD+0], s[sgprSrdD+0], s54       // incToNextRow: gra SRD += inc(lower)
s_addc_u32  s[sgprSrdD+1], s[sgprSrdD+1], 0        // incToNextRow: gra SRD += inc(upper)
_buffer_store_b64 v[80:81], v10, s[sgprSrdD:sgprSrdD+3], 0, offen, offset:0,  sc0 sc1 // store D
v_cmp_u_f32 s[54:55], v[vgprValuC+84], v[vgprValuC+84] // check Nan
v_bfe_u32 v6, v[vgprValuC+84], 16, 1               // Non-Nan case: store lsb of bf16
v_add3_u32 v6, v[vgprValuC+84], v6, v9             // Non-Nan case: add lsb and the increment for rounding
v_cndmask_b32 v[vgprValuC+84], v6, v8, s[54:55]    // 
v_lshrrev_b32 v[vgprValuC+84], 16, v[vgprValuC+84] // convert C to bf16
v_cmp_u_f32 s[54:55], v[vgprValuC+85], v[vgprValuC+85] // check Nan
v_bfe_u32 v6, v[vgprValuC+85], 16, 1               // Non-Nan case: store lsb of bf16
v_add3_u32 v6, v[vgprValuC+85], v6, v9             // Non-Nan case: add lsb and the increment for rounding
v_cndmask_b32 v[vgprValuC+85], v6, v8, s[54:55]    // 
v_and_or_b32 v84, v[vgprValuC+85], v7, v[vgprValuC+84] // pack two bf16 to dword
v_cmp_u_f32 s[54:55], v[vgprValuC+86], v[vgprValuC+86] // check Nan
v_bfe_u32 v6, v[vgprValuC+86], 16, 1               // Non-Nan case: store lsb of bf16
v_add3_u32 v6, v[vgprValuC+86], v6, v9             // Non-Nan case: add lsb and the increment for rounding
v_cndmask_b32 v[vgprValuC+86], v6, v8, s[54:55]    // 
v_lshrrev_b32 v[vgprValuC+86], 16, v[vgprValuC+86] // convert C to bf16
v_cmp_u_f32 s[54:55], v[vgprValuC+87], v[vgprValuC+87] // check Nan
v_bfe_u32 v6, v[vgprValuC+87], 16, 1               // Non-Nan case: store lsb of bf16
v_add3_u32 v6, v[vgprValuC+87], v6, v9             // Non-Nan case: add lsb and the increment for rounding
v_cndmask_b32 v[vgprValuC+87], v6, v8, s[54:55]    // 
v_and_or_b32 v85, v[vgprValuC+87], v7, v[vgprValuC+86] // pack two bf16 to dword
s_lshl_b32  s54, s[sgprStrideD1J], 1               // incToNextRow: Scale by BPE
	;; [unrolled: 24-line block ×3, first 2 shown]
s_add_u32  s[sgprSrdD+0], s[sgprSrdD+0], s54       // incToNextRow: gra SRD += inc(lower)
s_addc_u32  s[sgprSrdD+1], s[sgprSrdD+1], 0        // incToNextRow: gra SRD += inc(upper)
_buffer_store_b64 v[88:89], v10, s[sgprSrdD:sgprSrdD+3], 0, offen, offset:0,  sc0 sc1 // store D
v_cmp_u_f32 s[54:55], v[vgprValuC+92], v[vgprValuC+92] // check Nan
v_bfe_u32 v6, v[vgprValuC+92], 16, 1               // Non-Nan case: store lsb of bf16
v_add3_u32 v6, v[vgprValuC+92], v6, v9             // Non-Nan case: add lsb and the increment for rounding
v_cndmask_b32 v[vgprValuC+92], v6, v8, s[54:55]    // 
v_lshrrev_b32 v[vgprValuC+92], 16, v[vgprValuC+92] // convert C to bf16
v_cmp_u_f32 s[54:55], v[vgprValuC+93], v[vgprValuC+93] // check Nan
v_bfe_u32 v6, v[vgprValuC+93], 16, 1               // Non-Nan case: store lsb of bf16
v_add3_u32 v6, v[vgprValuC+93], v6, v9             // Non-Nan case: add lsb and the increment for rounding
v_cndmask_b32 v[vgprValuC+93], v6, v8, s[54:55]    // 
v_and_or_b32 v92, v[vgprValuC+93], v7, v[vgprValuC+92] // pack two bf16 to dword
v_cmp_u_f32 s[54:55], v[vgprValuC+94], v[vgprValuC+94] // check Nan
v_bfe_u32 v6, v[vgprValuC+94], 16, 1               // Non-Nan case: store lsb of bf16
v_add3_u32 v6, v[vgprValuC+94], v6, v9             // Non-Nan case: add lsb and the increment for rounding
v_cndmask_b32 v[vgprValuC+94], v6, v8, s[54:55]    // 
v_lshrrev_b32 v[vgprValuC+94], 16, v[vgprValuC+94] // convert C to bf16
v_cmp_u_f32 s[54:55], v[vgprValuC+95], v[vgprValuC+95] // check Nan
v_bfe_u32 v6, v[vgprValuC+95], 16, 1               // Non-Nan case: store lsb of bf16
v_add3_u32 v6, v[vgprValuC+95], v6, v9             // Non-Nan case: add lsb and the increment for rounding
v_cndmask_b32 v[vgprValuC+95], v6, v8, s[54:55]    // 
v_and_or_b32 v93, v[vgprValuC+95], v7, v[vgprValuC+94] // pack two bf16 to dword
s_mul_i32 s54, s[sgprStrideD1J], 26                // scale StrideD *= numRows(13) * bpe
s_add_u32  s[sgprSrdD+0], s[sgprSrdD+0], s54       // incToNextRow: gra SRD += inc(lower)
s_addc_u32  s[sgprSrdD+1], s[sgprSrdD+1], 0        // incToNextRow: gra SRD += inc(upper)
_buffer_store_b64 v[92:93], v10, s[sgprSrdD:sgprSrdD+3], 0, offen, offset:0,  sc0 sc1 // store D
v_cmp_u_f32 s[54:55], v[vgprValuC+96], v[vgprValuC+96] // check Nan
v_bfe_u32 v6, v[vgprValuC+96], 16, 1               // Non-Nan case: store lsb of bf16
v_add3_u32 v6, v[vgprValuC+96], v6, v9             // Non-Nan case: add lsb and the increment for rounding
v_cndmask_b32 v[vgprValuC+96], v6, v8, s[54:55]    // 
v_lshrrev_b32 v[vgprValuC+96], 16, v[vgprValuC+96] // convert C to bf16
v_cmp_u_f32 s[54:55], v[vgprValuC+97], v[vgprValuC+97] // check Nan
v_bfe_u32 v6, v[vgprValuC+97], 16, 1               // Non-Nan case: store lsb of bf16
v_add3_u32 v6, v[vgprValuC+97], v6, v9             // Non-Nan case: add lsb and the increment for rounding
v_cndmask_b32 v[vgprValuC+97], v6, v8, s[54:55]    // 
v_and_or_b32 v96, v[vgprValuC+97], v7, v[vgprValuC+96] // pack two bf16 to dword
v_cmp_u_f32 s[54:55], v[vgprValuC+98], v[vgprValuC+98] // check Nan
v_bfe_u32 v6, v[vgprValuC+98], 16, 1               // Non-Nan case: store lsb of bf16
v_add3_u32 v6, v[vgprValuC+98], v6, v9             // Non-Nan case: add lsb and the increment for rounding
v_cndmask_b32 v[vgprValuC+98], v6, v8, s[54:55]    // 
v_lshrrev_b32 v[vgprValuC+98], 16, v[vgprValuC+98] // convert C to bf16
v_cmp_u_f32 s[54:55], v[vgprValuC+99], v[vgprValuC+99] // check Nan
v_bfe_u32 v6, v[vgprValuC+99], 16, 1               // Non-Nan case: store lsb of bf16
v_add3_u32 v6, v[vgprValuC+99], v6, v9             // Non-Nan case: add lsb and the increment for rounding
v_cndmask_b32 v[vgprValuC+99], v6, v8, s[54:55]    // 
v_and_or_b32 v97, v[vgprValuC+99], v7, v[vgprValuC+98] // pack two bf16 to dword
s_lshl_b32  s54, s[sgprStrideD1J], 1               // incToNextRow: Scale by BPE
s_add_u32  s[sgprSrdD+0], s[sgprSrdD+0], s54       // incToNextRow: gra SRD += inc(lower)
s_addc_u32  s[sgprSrdD+1], s[sgprSrdD+1], 0        // incToNextRow: gra SRD += inc(upper)
_buffer_store_b64 v[96:97], v10, s[sgprSrdD:sgprSrdD+3], 0, offen, offset:0,  sc0 sc1 // store D
v_cmp_u_f32 s[54:55], v[vgprValuC+100], v[vgprValuC+100] // check Nan
v_bfe_u32 v6, v[vgprValuC+100], 16, 1              // Non-Nan case: store lsb of bf16
v_add3_u32 v6, v[vgprValuC+100], v6, v9            // Non-Nan case: add lsb and the increment for rounding
v_cndmask_b32 v[vgprValuC+100], v6, v8, s[54:55]   // 
v_lshrrev_b32 v[vgprValuC+100], 16, v[vgprValuC+100] // convert C to bf16
v_cmp_u_f32 s[54:55], v[vgprValuC+101], v[vgprValuC+101] // check Nan
v_bfe_u32 v6, v[vgprValuC+101], 16, 1              // Non-Nan case: store lsb of bf16
v_add3_u32 v6, v[vgprValuC+101], v6, v9            // Non-Nan case: add lsb and the increment for rounding
v_cndmask_b32 v[vgprValuC+101], v6, v8, s[54:55]   // 
v_and_or_b32 v100, v[vgprValuC+101], v7, v[vgprValuC+100] // pack two bf16 to dword
v_cmp_u_f32 s[54:55], v[vgprValuC+102], v[vgprValuC+102] // check Nan
v_bfe_u32 v6, v[vgprValuC+102], 16, 1              // Non-Nan case: store lsb of bf16
v_add3_u32 v6, v[vgprValuC+102], v6, v9            // Non-Nan case: add lsb and the increment for rounding
v_cndmask_b32 v[vgprValuC+102], v6, v8, s[54:55]   // 
v_lshrrev_b32 v[vgprValuC+102], 16, v[vgprValuC+102] // convert C to bf16
v_cmp_u_f32 s[54:55], v[vgprValuC+103], v[vgprValuC+103] // check Nan
v_bfe_u32 v6, v[vgprValuC+103], 16, 1              // Non-Nan case: store lsb of bf16
v_add3_u32 v6, v[vgprValuC+103], v6, v9            // Non-Nan case: add lsb and the increment for rounding
v_cndmask_b32 v[vgprValuC+103], v6, v8, s[54:55]   // 
v_and_or_b32 v101, v[vgprValuC+103], v7, v[vgprValuC+102] // pack two bf16 to dword
s_lshl_b32  s54, s[sgprStrideD1J], 1               // incToNextRow: Scale by BPE
s_add_u32  s[sgprSrdD+0], s[sgprSrdD+0], s54       // incToNextRow: gra SRD += inc(lower)
s_addc_u32  s[sgprSrdD+1], s[sgprSrdD+1], 0        // incToNextRow: gra SRD += inc(upper)
_buffer_store_b64 v[100:101], v10, s[sgprSrdD:sgprSrdD+3], 0, offen, offset:0,  sc0 sc1 // store D
v_cmp_u_f32 s[54:55], v[vgprValuC+104], v[vgprValuC+104] // check Nan
v_bfe_u32 v6, v[vgprValuC+104], 16, 1              // Non-Nan case: store lsb of bf16
v_add3_u32 v6, v[vgprValuC+104], v6, v9            // Non-Nan case: add lsb and the increment for rounding
v_cndmask_b32 v[vgprValuC+104], v6, v8, s[54:55]   // 
v_lshrrev_b32 v[vgprValuC+104], 16, v[vgprValuC+104] // convert C to bf16
v_cmp_u_f32 s[54:55], v[vgprValuC+105], v[vgprValuC+105] // check Nan
v_bfe_u32 v6, v[vgprValuC+105], 16, 1              // Non-Nan case: store lsb of bf16
v_add3_u32 v6, v[vgprValuC+105], v6, v9            // Non-Nan case: add lsb and the increment for rounding
v_cndmask_b32 v[vgprValuC+105], v6, v8, s[54:55]   // 
v_and_or_b32 v104, v[vgprValuC+105], v7, v[vgprValuC+104] // pack two bf16 to dword
v_cmp_u_f32 s[54:55], v[vgprValuC+106], v[vgprValuC+106] // check Nan
v_bfe_u32 v6, v[vgprValuC+106], 16, 1              // Non-Nan case: store lsb of bf16
v_add3_u32 v6, v[vgprValuC+106], v6, v9            // Non-Nan case: add lsb and the increment for rounding
v_cndmask_b32 v[vgprValuC+106], v6, v8, s[54:55]   // 
v_lshrrev_b32 v[vgprValuC+106], 16, v[vgprValuC+106] // convert C to bf16
v_cmp_u_f32 s[54:55], v[vgprValuC+107], v[vgprValuC+107] // check Nan
v_bfe_u32 v6, v[vgprValuC+107], 16, 1              // Non-Nan case: store lsb of bf16
v_add3_u32 v6, v[vgprValuC+107], v6, v9            // Non-Nan case: add lsb and the increment for rounding
v_cndmask_b32 v[vgprValuC+107], v6, v8, s[54:55]   // 
	;; [unrolled: 24-line block ×3, first 2 shown]
v_and_or_b32 v109, v[vgprValuC+111], v7, v[vgprValuC+110] // pack two bf16 to dword
s_mul_i32 s54, s[sgprStrideD1J], 26                // scale StrideD *= numRows(13) * bpe
s_add_u32  s[sgprSrdD+0], s[sgprSrdD+0], s54       // incToNextRow: gra SRD += inc(lower)
s_addc_u32  s[sgprSrdD+1], s[sgprSrdD+1], 0        // incToNextRow: gra SRD += inc(upper)
_buffer_store_b64 v[108:109], v10, s[sgprSrdD:sgprSrdD+3], 0, offen, offset:0,  sc0 sc1 // store D
v_cmp_u_f32 s[54:55], v[vgprValuC+112], v[vgprValuC+112] // check Nan
v_bfe_u32 v6, v[vgprValuC+112], 16, 1              // Non-Nan case: store lsb of bf16
v_add3_u32 v6, v[vgprValuC+112], v6, v9            // Non-Nan case: add lsb and the increment for rounding
v_cndmask_b32 v[vgprValuC+112], v6, v8, s[54:55]   // 
v_lshrrev_b32 v[vgprValuC+112], 16, v[vgprValuC+112] // convert C to bf16
v_cmp_u_f32 s[54:55], v[vgprValuC+113], v[vgprValuC+113] // check Nan
v_bfe_u32 v6, v[vgprValuC+113], 16, 1              // Non-Nan case: store lsb of bf16
v_add3_u32 v6, v[vgprValuC+113], v6, v9            // Non-Nan case: add lsb and the increment for rounding
v_cndmask_b32 v[vgprValuC+113], v6, v8, s[54:55]   // 
v_and_or_b32 v112, v[vgprValuC+113], v7, v[vgprValuC+112] // pack two bf16 to dword
v_cmp_u_f32 s[54:55], v[vgprValuC+114], v[vgprValuC+114] // check Nan
v_bfe_u32 v6, v[vgprValuC+114], 16, 1              // Non-Nan case: store lsb of bf16
v_add3_u32 v6, v[vgprValuC+114], v6, v9            // Non-Nan case: add lsb and the increment for rounding
v_cndmask_b32 v[vgprValuC+114], v6, v8, s[54:55]   // 
v_lshrrev_b32 v[vgprValuC+114], 16, v[vgprValuC+114] // convert C to bf16
v_cmp_u_f32 s[54:55], v[vgprValuC+115], v[vgprValuC+115] // check Nan
v_bfe_u32 v6, v[vgprValuC+115], 16, 1              // Non-Nan case: store lsb of bf16
v_add3_u32 v6, v[vgprValuC+115], v6, v9            // Non-Nan case: add lsb and the increment for rounding
v_cndmask_b32 v[vgprValuC+115], v6, v8, s[54:55]   // 
v_and_or_b32 v113, v[vgprValuC+115], v7, v[vgprValuC+114] // pack two bf16 to dword
s_lshl_b32  s54, s[sgprStrideD1J], 1               // incToNextRow: Scale by BPE
s_add_u32  s[sgprSrdD+0], s[sgprSrdD+0], s54       // incToNextRow: gra SRD += inc(lower)
s_addc_u32  s[sgprSrdD+1], s[sgprSrdD+1], 0        // incToNextRow: gra SRD += inc(upper)
_buffer_store_b64 v[112:113], v10, s[sgprSrdD:sgprSrdD+3], 0, offen, offset:0,  sc0 sc1 // store D
v_cmp_u_f32 s[54:55], v[vgprValuC+116], v[vgprValuC+116] // check Nan
v_bfe_u32 v6, v[vgprValuC+116], 16, 1              // Non-Nan case: store lsb of bf16
v_add3_u32 v6, v[vgprValuC+116], v6, v9            // Non-Nan case: add lsb and the increment for rounding
v_cndmask_b32 v[vgprValuC+116], v6, v8, s[54:55]   // 
v_lshrrev_b32 v[vgprValuC+116], 16, v[vgprValuC+116] // convert C to bf16
v_cmp_u_f32 s[54:55], v[vgprValuC+117], v[vgprValuC+117] // check Nan
v_bfe_u32 v6, v[vgprValuC+117], 16, 1              // Non-Nan case: store lsb of bf16
v_add3_u32 v6, v[vgprValuC+117], v6, v9            // Non-Nan case: add lsb and the increment for rounding
v_cndmask_b32 v[vgprValuC+117], v6, v8, s[54:55]   // 
v_and_or_b32 v116, v[vgprValuC+117], v7, v[vgprValuC+116] // pack two bf16 to dword
v_cmp_u_f32 s[54:55], v[vgprValuC+118], v[vgprValuC+118] // check Nan
v_bfe_u32 v6, v[vgprValuC+118], 16, 1              // Non-Nan case: store lsb of bf16
v_add3_u32 v6, v[vgprValuC+118], v6, v9            // Non-Nan case: add lsb and the increment for rounding
v_cndmask_b32 v[vgprValuC+118], v6, v8, s[54:55]   // 
v_lshrrev_b32 v[vgprValuC+118], 16, v[vgprValuC+118] // convert C to bf16
v_cmp_u_f32 s[54:55], v[vgprValuC+119], v[vgprValuC+119] // check Nan
v_bfe_u32 v6, v[vgprValuC+119], 16, 1              // Non-Nan case: store lsb of bf16
v_add3_u32 v6, v[vgprValuC+119], v6, v9            // Non-Nan case: add lsb and the increment for rounding
v_cndmask_b32 v[vgprValuC+119], v6, v8, s[54:55]   // 
v_and_or_b32 v117, v[vgprValuC+119], v7, v[vgprValuC+118] // pack two bf16 to dword
s_lshl_b32  s54, s[sgprStrideD1J], 1               // incToNextRow: Scale by BPE
	;; [unrolled: 24-line block ×3, first 2 shown]
s_add_u32  s[sgprSrdD+0], s[sgprSrdD+0], s54       // incToNextRow: gra SRD += inc(lower)
s_addc_u32  s[sgprSrdD+1], s[sgprSrdD+1], 0        // incToNextRow: gra SRD += inc(upper)
_buffer_store_b64 v[120:121], v10, s[sgprSrdD:sgprSrdD+3], 0, offen, offset:0,  sc0 sc1 // store D
v_cmp_u_f32 s[54:55], v[vgprValuC+124], v[vgprValuC+124] // check Nan
v_bfe_u32 v6, v[vgprValuC+124], 16, 1              // Non-Nan case: store lsb of bf16
v_add3_u32 v6, v[vgprValuC+124], v6, v9            // Non-Nan case: add lsb and the increment for rounding
v_cndmask_b32 v[vgprValuC+124], v6, v8, s[54:55]   // 
v_lshrrev_b32 v[vgprValuC+124], 16, v[vgprValuC+124] // convert C to bf16
v_cmp_u_f32 s[54:55], v[vgprValuC+125], v[vgprValuC+125] // check Nan
v_bfe_u32 v6, v[vgprValuC+125], 16, 1              // Non-Nan case: store lsb of bf16
v_add3_u32 v6, v[vgprValuC+125], v6, v9            // Non-Nan case: add lsb and the increment for rounding
v_cndmask_b32 v[vgprValuC+125], v6, v8, s[54:55]   // 
v_and_or_b32 v124, v[vgprValuC+125], v7, v[vgprValuC+124] // pack two bf16 to dword
v_cmp_u_f32 s[54:55], v[vgprValuC+126], v[vgprValuC+126] // check Nan
v_bfe_u32 v6, v[vgprValuC+126], 16, 1              // Non-Nan case: store lsb of bf16
v_add3_u32 v6, v[vgprValuC+126], v6, v9            // Non-Nan case: add lsb and the increment for rounding
v_cndmask_b32 v[vgprValuC+126], v6, v8, s[54:55]   // 
v_lshrrev_b32 v[vgprValuC+126], 16, v[vgprValuC+126] // convert C to bf16
v_cmp_u_f32 s[54:55], v[vgprValuC+127], v[vgprValuC+127] // check Nan
v_bfe_u32 v6, v[vgprValuC+127], 16, 1              // Non-Nan case: store lsb of bf16
v_add3_u32 v6, v[vgprValuC+127], v6, v9            // Non-Nan case: add lsb and the increment for rounding
v_cndmask_b32 v[vgprValuC+127], v6, v8, s[54:55]   // 
v_and_or_b32 v125, v[vgprValuC+127], v7, v[vgprValuC+126] // pack two bf16 to dword
s_mul_i32 s54, s[sgprStrideD1J], 26                // scale StrideD *= numRows(13) * bpe
s_add_u32  s[sgprSrdD+0], s[sgprSrdD+0], s54       // incToNextRow: gra SRD += inc(lower)
s_addc_u32  s[sgprSrdD+1], s[sgprSrdD+1], 0        // incToNextRow: gra SRD += inc(upper)
_buffer_store_b64 v[124:125], v10, s[sgprSrdD:sgprSrdD+3], 0, offen, offset:0,  sc0 sc1 // store D
v_cmp_u_f32 s[54:55], v[vgprValuC+128], v[vgprValuC+128] // check Nan
v_bfe_u32 v6, v[vgprValuC+128], 16, 1              // Non-Nan case: store lsb of bf16
v_add3_u32 v6, v[vgprValuC+128], v6, v9            // Non-Nan case: add lsb and the increment for rounding
v_cndmask_b32 v[vgprValuC+128], v6, v8, s[54:55]   // 
v_lshrrev_b32 v[vgprValuC+128], 16, v[vgprValuC+128] // convert C to bf16
v_cmp_u_f32 s[54:55], v[vgprValuC+129], v[vgprValuC+129] // check Nan
v_bfe_u32 v6, v[vgprValuC+129], 16, 1              // Non-Nan case: store lsb of bf16
v_add3_u32 v6, v[vgprValuC+129], v6, v9            // Non-Nan case: add lsb and the increment for rounding
v_cndmask_b32 v[vgprValuC+129], v6, v8, s[54:55]   // 
v_and_or_b32 v128, v[vgprValuC+129], v7, v[vgprValuC+128] // pack two bf16 to dword
v_cmp_u_f32 s[54:55], v[vgprValuC+130], v[vgprValuC+130] // check Nan
v_bfe_u32 v6, v[vgprValuC+130], 16, 1              // Non-Nan case: store lsb of bf16
v_add3_u32 v6, v[vgprValuC+130], v6, v9            // Non-Nan case: add lsb and the increment for rounding
v_cndmask_b32 v[vgprValuC+130], v6, v8, s[54:55]   // 
v_lshrrev_b32 v[vgprValuC+130], 16, v[vgprValuC+130] // convert C to bf16
v_cmp_u_f32 s[54:55], v[vgprValuC+131], v[vgprValuC+131] // check Nan
v_bfe_u32 v6, v[vgprValuC+131], 16, 1              // Non-Nan case: store lsb of bf16
v_add3_u32 v6, v[vgprValuC+131], v6, v9            // Non-Nan case: add lsb and the increment for rounding
v_cndmask_b32 v[vgprValuC+131], v6, v8, s[54:55]   // 
v_and_or_b32 v129, v[vgprValuC+131], v7, v[vgprValuC+130] // pack two bf16 to dword
s_lshl_b32  s54, s[sgprStrideD1J], 1               // incToNextRow: Scale by BPE
s_add_u32  s[sgprSrdD+0], s[sgprSrdD+0], s54       // incToNextRow: gra SRD += inc(lower)
s_addc_u32  s[sgprSrdD+1], s[sgprSrdD+1], 0        // incToNextRow: gra SRD += inc(upper)
_buffer_store_b64 v[128:129], v10, s[sgprSrdD:sgprSrdD+3], 0, offen, offset:0,  sc0 sc1 // store D
v_cmp_u_f32 s[54:55], v[vgprValuC+132], v[vgprValuC+132] // check Nan
v_bfe_u32 v6, v[vgprValuC+132], 16, 1              // Non-Nan case: store lsb of bf16
v_add3_u32 v6, v[vgprValuC+132], v6, v9            // Non-Nan case: add lsb and the increment for rounding
v_cndmask_b32 v[vgprValuC+132], v6, v8, s[54:55]   // 
v_lshrrev_b32 v[vgprValuC+132], 16, v[vgprValuC+132] // convert C to bf16
v_cmp_u_f32 s[54:55], v[vgprValuC+133], v[vgprValuC+133] // check Nan
v_bfe_u32 v6, v[vgprValuC+133], 16, 1              // Non-Nan case: store lsb of bf16
v_add3_u32 v6, v[vgprValuC+133], v6, v9            // Non-Nan case: add lsb and the increment for rounding
v_cndmask_b32 v[vgprValuC+133], v6, v8, s[54:55]   // 
v_and_or_b32 v132, v[vgprValuC+133], v7, v[vgprValuC+132] // pack two bf16 to dword
v_cmp_u_f32 s[54:55], v[vgprValuC+134], v[vgprValuC+134] // check Nan
v_bfe_u32 v6, v[vgprValuC+134], 16, 1              // Non-Nan case: store lsb of bf16
v_add3_u32 v6, v[vgprValuC+134], v6, v9            // Non-Nan case: add lsb and the increment for rounding
v_cndmask_b32 v[vgprValuC+134], v6, v8, s[54:55]   // 
v_lshrrev_b32 v[vgprValuC+134], 16, v[vgprValuC+134] // convert C to bf16
v_cmp_u_f32 s[54:55], v[vgprValuC+135], v[vgprValuC+135] // check Nan
v_bfe_u32 v6, v[vgprValuC+135], 16, 1              // Non-Nan case: store lsb of bf16
v_add3_u32 v6, v[vgprValuC+135], v6, v9            // Non-Nan case: add lsb and the increment for rounding
v_cndmask_b32 v[vgprValuC+135], v6, v8, s[54:55]   // 
v_and_or_b32 v133, v[vgprValuC+135], v7, v[vgprValuC+134] // pack two bf16 to dword
s_lshl_b32  s54, s[sgprStrideD1J], 1               // incToNextRow: Scale by BPE
	;; [unrolled: 24-line block ×3, first 2 shown]
s_add_u32  s[sgprSrdD+0], s[sgprSrdD+0], s54       // incToNextRow: gra SRD += inc(lower)
s_addc_u32  s[sgprSrdD+1], s[sgprSrdD+1], 0        // incToNextRow: gra SRD += inc(upper)
_buffer_store_b64 v[136:137], v10, s[sgprSrdD:sgprSrdD+3], 0, offen, offset:0,  sc0 sc1 // store D
v_cmp_u_f32 s[54:55], v[vgprValuC+140], v[vgprValuC+140] // check Nan
v_bfe_u32 v6, v[vgprValuC+140], 16, 1              // Non-Nan case: store lsb of bf16
v_add3_u32 v6, v[vgprValuC+140], v6, v9            // Non-Nan case: add lsb and the increment for rounding
v_cndmask_b32 v[vgprValuC+140], v6, v8, s[54:55]   // 
v_lshrrev_b32 v[vgprValuC+140], 16, v[vgprValuC+140] // convert C to bf16
v_cmp_u_f32 s[54:55], v[vgprValuC+141], v[vgprValuC+141] // check Nan
v_bfe_u32 v6, v[vgprValuC+141], 16, 1              // Non-Nan case: store lsb of bf16
v_add3_u32 v6, v[vgprValuC+141], v6, v9            // Non-Nan case: add lsb and the increment for rounding
v_cndmask_b32 v[vgprValuC+141], v6, v8, s[54:55]   // 
v_and_or_b32 v140, v[vgprValuC+141], v7, v[vgprValuC+140] // pack two bf16 to dword
v_cmp_u_f32 s[54:55], v[vgprValuC+142], v[vgprValuC+142] // check Nan
v_bfe_u32 v6, v[vgprValuC+142], 16, 1              // Non-Nan case: store lsb of bf16
v_add3_u32 v6, v[vgprValuC+142], v6, v9            // Non-Nan case: add lsb and the increment for rounding
v_cndmask_b32 v[vgprValuC+142], v6, v8, s[54:55]   // 
v_lshrrev_b32 v[vgprValuC+142], 16, v[vgprValuC+142] // convert C to bf16
v_cmp_u_f32 s[54:55], v[vgprValuC+143], v[vgprValuC+143] // check Nan
v_bfe_u32 v6, v[vgprValuC+143], 16, 1              // Non-Nan case: store lsb of bf16
v_add3_u32 v6, v[vgprValuC+143], v6, v9            // Non-Nan case: add lsb and the increment for rounding
v_cndmask_b32 v[vgprValuC+143], v6, v8, s[54:55]   // 
v_and_or_b32 v141, v[vgprValuC+143], v7, v[vgprValuC+142] // pack two bf16 to dword
s_mul_i32 s54, s[sgprStrideD1J], 26                // scale StrideD *= numRows(13) * bpe
s_add_u32  s[sgprSrdD+0], s[sgprSrdD+0], s54       // incToNextRow: gra SRD += inc(lower)
s_addc_u32  s[sgprSrdD+1], s[sgprSrdD+1], 0        // incToNextRow: gra SRD += inc(upper)
_buffer_store_b64 v[140:141], v10, s[sgprSrdD:sgprSrdD+3], 0, offen, offset:0,  sc0 sc1 // store D
v_cmp_u_f32 s[54:55], v[vgprValuC+144], v[vgprValuC+144] // check Nan
v_bfe_u32 v6, v[vgprValuC+144], 16, 1              // Non-Nan case: store lsb of bf16
v_add3_u32 v6, v[vgprValuC+144], v6, v9            // Non-Nan case: add lsb and the increment for rounding
v_cndmask_b32 v[vgprValuC+144], v6, v8, s[54:55]   // 
v_lshrrev_b32 v[vgprValuC+144], 16, v[vgprValuC+144] // convert C to bf16
v_cmp_u_f32 s[54:55], v[vgprValuC+145], v[vgprValuC+145] // check Nan
v_bfe_u32 v6, v[vgprValuC+145], 16, 1              // Non-Nan case: store lsb of bf16
v_add3_u32 v6, v[vgprValuC+145], v6, v9            // Non-Nan case: add lsb and the increment for rounding
v_cndmask_b32 v[vgprValuC+145], v6, v8, s[54:55]   // 
v_and_or_b32 v144, v[vgprValuC+145], v7, v[vgprValuC+144] // pack two bf16 to dword
v_cmp_u_f32 s[54:55], v[vgprValuC+146], v[vgprValuC+146] // check Nan
v_bfe_u32 v6, v[vgprValuC+146], 16, 1              // Non-Nan case: store lsb of bf16
v_add3_u32 v6, v[vgprValuC+146], v6, v9            // Non-Nan case: add lsb and the increment for rounding
v_cndmask_b32 v[vgprValuC+146], v6, v8, s[54:55]   // 
v_lshrrev_b32 v[vgprValuC+146], 16, v[vgprValuC+146] // convert C to bf16
v_cmp_u_f32 s[54:55], v[vgprValuC+147], v[vgprValuC+147] // check Nan
v_bfe_u32 v6, v[vgprValuC+147], 16, 1              // Non-Nan case: store lsb of bf16
v_add3_u32 v6, v[vgprValuC+147], v6, v9            // Non-Nan case: add lsb and the increment for rounding
v_cndmask_b32 v[vgprValuC+147], v6, v8, s[54:55]   // 
v_and_or_b32 v145, v[vgprValuC+147], v7, v[vgprValuC+146] // pack two bf16 to dword
s_lshl_b32  s54, s[sgprStrideD1J], 1               // incToNextRow: Scale by BPE
s_add_u32  s[sgprSrdD+0], s[sgprSrdD+0], s54       // incToNextRow: gra SRD += inc(lower)
s_addc_u32  s[sgprSrdD+1], s[sgprSrdD+1], 0        // incToNextRow: gra SRD += inc(upper)
_buffer_store_b64 v[144:145], v10, s[sgprSrdD:sgprSrdD+3], 0, offen, offset:0,  sc0 sc1 // store D
v_cmp_u_f32 s[54:55], v[vgprValuC+148], v[vgprValuC+148] // check Nan
v_bfe_u32 v6, v[vgprValuC+148], 16, 1              // Non-Nan case: store lsb of bf16
v_add3_u32 v6, v[vgprValuC+148], v6, v9            // Non-Nan case: add lsb and the increment for rounding
v_cndmask_b32 v[vgprValuC+148], v6, v8, s[54:55]   // 
v_lshrrev_b32 v[vgprValuC+148], 16, v[vgprValuC+148] // convert C to bf16
v_cmp_u_f32 s[54:55], v[vgprValuC+149], v[vgprValuC+149] // check Nan
v_bfe_u32 v6, v[vgprValuC+149], 16, 1              // Non-Nan case: store lsb of bf16
v_add3_u32 v6, v[vgprValuC+149], v6, v9            // Non-Nan case: add lsb and the increment for rounding
v_cndmask_b32 v[vgprValuC+149], v6, v8, s[54:55]   // 
v_and_or_b32 v148, v[vgprValuC+149], v7, v[vgprValuC+148] // pack two bf16 to dword
v_cmp_u_f32 s[54:55], v[vgprValuC+150], v[vgprValuC+150] // check Nan
v_bfe_u32 v6, v[vgprValuC+150], 16, 1              // Non-Nan case: store lsb of bf16
v_add3_u32 v6, v[vgprValuC+150], v6, v9            // Non-Nan case: add lsb and the increment for rounding
v_cndmask_b32 v[vgprValuC+150], v6, v8, s[54:55]   // 
v_lshrrev_b32 v[vgprValuC+150], 16, v[vgprValuC+150] // convert C to bf16
v_cmp_u_f32 s[54:55], v[vgprValuC+151], v[vgprValuC+151] // check Nan
v_bfe_u32 v6, v[vgprValuC+151], 16, 1              // Non-Nan case: store lsb of bf16
v_add3_u32 v6, v[vgprValuC+151], v6, v9            // Non-Nan case: add lsb and the increment for rounding
v_cndmask_b32 v[vgprValuC+151], v6, v8, s[54:55]   // 
v_and_or_b32 v149, v[vgprValuC+151], v7, v[vgprValuC+150] // pack two bf16 to dword
s_lshl_b32  s54, s[sgprStrideD1J], 1               // incToNextRow: Scale by BPE
s_add_u32  s[sgprSrdD+0], s[sgprSrdD+0], s54       // incToNextRow: gra SRD += inc(lower)
s_addc_u32  s[sgprSrdD+1], s[sgprSrdD+1], 0        // incToNextRow: gra SRD += inc(upper)
_buffer_store_b64 v[148:149], v10, s[sgprSrdD:sgprSrdD+3], 0, offen, offset:0,  sc0 sc1 // store D
v_cmp_u_f32 s[54:55], v[vgprValuC+152], v[vgprValuC+152] // check Nan
v_bfe_u32 v6, v[vgprValuC+152], 16, 1              // Non-Nan case: store lsb of bf16
v_add3_u32 v6, v[vgprValuC+152], v6, v9            // Non-Nan case: add lsb and the increment for rounding
v_cndmask_b32 v[vgprValuC+152], v6, v8, s[54:55]   // 
v_lshrrev_b32 v[vgprValuC+152], 16, v[vgprValuC+152] // convert C to bf16
v_cmp_u_f32 s[54:55], v[vgprValuC+153], v[vgprValuC+153] // check Nan
v_bfe_u32 v6, v[vgprValuC+153], 16, 1              // Non-Nan case: store lsb of bf16
v_add3_u32 v6, v[vgprValuC+153], v6, v9            // Non-Nan case: add lsb and the increment for rounding
v_cndmask_b32 v[vgprValuC+153], v6, v8, s[54:55]   // 
v_and_or_b32 v152, v[vgprValuC+153], v7, v[vgprValuC+152] // pack two bf16 to dword
v_cmp_u_f32 s[54:55], v[vgprValuC+154], v[vgprValuC+154] // check Nan
v_bfe_u32 v6, v[vgprValuC+154], 16, 1              // Non-Nan case: store lsb of bf16
v_add3_u32 v6, v[vgprValuC+154], v6, v9            // Non-Nan case: add lsb and the increment for rounding
v_cndmask_b32 v[vgprValuC+154], v6, v8, s[54:55]   // 
v_lshrrev_b32 v[vgprValuC+154], 16, v[vgprValuC+154] // convert C to bf16
v_cmp_u_f32 s[54:55], v[vgprValuC+155], v[vgprValuC+155] // check Nan
v_bfe_u32 v6, v[vgprValuC+155], 16, 1              // Non-Nan case: store lsb of bf16
v_add3_u32 v6, v[vgprValuC+155], v6, v9            // Non-Nan case: add lsb and the increment for rounding
v_cndmask_b32 v[vgprValuC+155], v6, v8, s[54:55]   // 
v_and_or_b32 v153, v[vgprValuC+155], v7, v[vgprValuC+154] // pack two bf16 to dword
s_lshl_b32  s54, s[sgprStrideD1J], 1               // incToNextRow: Scale by BPE
s_add_u32  s[sgprSrdD+0], s[sgprSrdD+0], s54       // incToNextRow: gra SRD += inc(lower)
s_addc_u32  s[sgprSrdD+1], s[sgprSrdD+1], 0        // incToNextRow: gra SRD += inc(upper)
_buffer_store_b64 v[152:153], v10, s[sgprSrdD:sgprSrdD+3], 0, offen, offset:0,  sc0 sc1 // store D
v_cmp_u_f32 s[54:55], v[vgprValuC+156], v[vgprValuC+156] // check Nan
v_bfe_u32 v6, v[vgprValuC+156], 16, 1              // Non-Nan case: store lsb of bf16
v_add3_u32 v6, v[vgprValuC+156], v6, v9            // Non-Nan case: add lsb and the increment for rounding
v_cndmask_b32 v[vgprValuC+156], v6, v8, s[54:55]   // 
v_lshrrev_b32 v[vgprValuC+156], 16, v[vgprValuC+156] // convert C to bf16
v_cmp_u_f32 s[54:55], v[vgprValuC+157], v[vgprValuC+157] // check Nan
v_bfe_u32 v6, v[vgprValuC+157], 16, 1              // Non-Nan case: store lsb of bf16
v_add3_u32 v6, v[vgprValuC+157], v6, v9            // Non-Nan case: add lsb and the increment for rounding
v_cndmask_b32 v[vgprValuC+157], v6, v8, s[54:55]   // 
v_and_or_b32 v156, v[vgprValuC+157], v7, v[vgprValuC+156] // pack two bf16 to dword
v_cmp_u_f32 s[54:55], v[vgprValuC+158], v[vgprValuC+158] // check Nan
v_bfe_u32 v6, v[vgprValuC+158], 16, 1              // Non-Nan case: store lsb of bf16
v_add3_u32 v6, v[vgprValuC+158], v6, v9            // Non-Nan case: add lsb and the increment for rounding
v_cndmask_b32 v[vgprValuC+158], v6, v8, s[54:55]   // 
v_lshrrev_b32 v[vgprValuC+158], 16, v[vgprValuC+158] // convert C to bf16
v_cmp_u_f32 s[54:55], v[vgprValuC+159], v[vgprValuC+159] // check Nan
v_bfe_u32 v6, v[vgprValuC+159], 16, 1              // Non-Nan case: store lsb of bf16
v_add3_u32 v6, v[vgprValuC+159], v6, v9            // Non-Nan case: add lsb and the increment for rounding
v_cndmask_b32 v[vgprValuC+159], v6, v8, s[54:55]   // 
v_and_or_b32 v157, v[vgprValuC+159], v7, v[vgprValuC+158] // pack two bf16 to dword
s_mul_i32 s54, s[sgprStrideD1J], 26                // scale StrideD *= numRows(13) * bpe
s_add_u32  s[sgprSrdD+0], s[sgprSrdD+0], s54       // incToNextRow: gra SRD += inc(lower)
s_addc_u32  s[sgprSrdD+1], s[sgprSrdD+1], 0        // incToNextRow: gra SRD += inc(upper)
_buffer_store_b64 v[156:157], v10, s[sgprSrdD:sgprSrdD+3], 0, offen, offset:0,  sc0 sc1 // store D
v_cmp_u_f32 s[54:55], v[vgprValuC+160], v[vgprValuC+160] // check Nan
v_bfe_u32 v6, v[vgprValuC+160], 16, 1              // Non-Nan case: store lsb of bf16
v_add3_u32 v6, v[vgprValuC+160], v6, v9            // Non-Nan case: add lsb and the increment for rounding
v_cndmask_b32 v[vgprValuC+160], v6, v8, s[54:55]   // 
v_lshrrev_b32 v[vgprValuC+160], 16, v[vgprValuC+160] // convert C to bf16
v_cmp_u_f32 s[54:55], v[vgprValuC+161], v[vgprValuC+161] // check Nan
v_bfe_u32 v6, v[vgprValuC+161], 16, 1              // Non-Nan case: store lsb of bf16
v_add3_u32 v6, v[vgprValuC+161], v6, v9            // Non-Nan case: add lsb and the increment for rounding
v_cndmask_b32 v[vgprValuC+161], v6, v8, s[54:55]   // 
v_and_or_b32 v160, v[vgprValuC+161], v7, v[vgprValuC+160] // pack two bf16 to dword
v_cmp_u_f32 s[54:55], v[vgprValuC+162], v[vgprValuC+162] // check Nan
v_bfe_u32 v6, v[vgprValuC+162], 16, 1              // Non-Nan case: store lsb of bf16
v_add3_u32 v6, v[vgprValuC+162], v6, v9            // Non-Nan case: add lsb and the increment for rounding
v_cndmask_b32 v[vgprValuC+162], v6, v8, s[54:55]   // 
v_lshrrev_b32 v[vgprValuC+162], 16, v[vgprValuC+162] // convert C to bf16
v_cmp_u_f32 s[54:55], v[vgprValuC+163], v[vgprValuC+163] // check Nan
v_bfe_u32 v6, v[vgprValuC+163], 16, 1              // Non-Nan case: store lsb of bf16
v_add3_u32 v6, v[vgprValuC+163], v6, v9            // Non-Nan case: add lsb and the increment for rounding
v_cndmask_b32 v[vgprValuC+163], v6, v8, s[54:55]   // 
v_and_or_b32 v161, v[vgprValuC+163], v7, v[vgprValuC+162] // pack two bf16 to dword
s_lshl_b32  s54, s[sgprStrideD1J], 1               // incToNextRow: Scale by BPE
s_add_u32  s[sgprSrdD+0], s[sgprSrdD+0], s54       // incToNextRow: gra SRD += inc(lower)
s_addc_u32  s[sgprSrdD+1], s[sgprSrdD+1], 0        // incToNextRow: gra SRD += inc(upper)
_buffer_store_b64 v[160:161], v10, s[sgprSrdD:sgprSrdD+3], 0, offen, offset:0,  sc0 sc1 // store D
v_cmp_u_f32 s[54:55], v[vgprValuC+164], v[vgprValuC+164] // check Nan
v_bfe_u32 v6, v[vgprValuC+164], 16, 1              // Non-Nan case: store lsb of bf16
v_add3_u32 v6, v[vgprValuC+164], v6, v9            // Non-Nan case: add lsb and the increment for rounding
v_cndmask_b32 v[vgprValuC+164], v6, v8, s[54:55]   // 
v_lshrrev_b32 v[vgprValuC+164], 16, v[vgprValuC+164] // convert C to bf16
v_cmp_u_f32 s[54:55], v[vgprValuC+165], v[vgprValuC+165] // check Nan
v_bfe_u32 v6, v[vgprValuC+165], 16, 1              // Non-Nan case: store lsb of bf16
v_add3_u32 v6, v[vgprValuC+165], v6, v9            // Non-Nan case: add lsb and the increment for rounding
v_cndmask_b32 v[vgprValuC+165], v6, v8, s[54:55]   // 
v_and_or_b32 v164, v[vgprValuC+165], v7, v[vgprValuC+164] // pack two bf16 to dword
v_cmp_u_f32 s[54:55], v[vgprValuC+166], v[vgprValuC+166] // check Nan
v_bfe_u32 v6, v[vgprValuC+166], 16, 1              // Non-Nan case: store lsb of bf16
v_add3_u32 v6, v[vgprValuC+166], v6, v9            // Non-Nan case: add lsb and the increment for rounding
v_cndmask_b32 v[vgprValuC+166], v6, v8, s[54:55]   // 
v_lshrrev_b32 v[vgprValuC+166], 16, v[vgprValuC+166] // convert C to bf16
v_cmp_u_f32 s[54:55], v[vgprValuC+167], v[vgprValuC+167] // check Nan
v_bfe_u32 v6, v[vgprValuC+167], 16, 1              // Non-Nan case: store lsb of bf16
v_add3_u32 v6, v[vgprValuC+167], v6, v9            // Non-Nan case: add lsb and the increment for rounding
v_cndmask_b32 v[vgprValuC+167], v6, v8, s[54:55]   // 
v_and_or_b32 v165, v[vgprValuC+167], v7, v[vgprValuC+166] // pack two bf16 to dword
s_lshl_b32  s54, s[sgprStrideD1J], 1               // incToNextRow: Scale by BPE
	;; [unrolled: 24-line block ×3, first 2 shown]
s_add_u32  s[sgprSrdD+0], s[sgprSrdD+0], s54       // incToNextRow: gra SRD += inc(lower)
s_addc_u32  s[sgprSrdD+1], s[sgprSrdD+1], 0        // incToNextRow: gra SRD += inc(upper)
_buffer_store_b64 v[168:169], v10, s[sgprSrdD:sgprSrdD+3], 0, offen, offset:0,  sc0 sc1 // store D
v_cmp_u_f32 s[54:55], v[vgprValuC+172], v[vgprValuC+172] // check Nan
v_bfe_u32 v6, v[vgprValuC+172], 16, 1              // Non-Nan case: store lsb of bf16
v_add3_u32 v6, v[vgprValuC+172], v6, v9            // Non-Nan case: add lsb and the increment for rounding
v_cndmask_b32 v[vgprValuC+172], v6, v8, s[54:55]   // 
v_lshrrev_b32 v[vgprValuC+172], 16, v[vgprValuC+172] // convert C to bf16
v_cmp_u_f32 s[54:55], v[vgprValuC+173], v[vgprValuC+173] // check Nan
v_bfe_u32 v6, v[vgprValuC+173], 16, 1              // Non-Nan case: store lsb of bf16
v_add3_u32 v6, v[vgprValuC+173], v6, v9            // Non-Nan case: add lsb and the increment for rounding
v_cndmask_b32 v[vgprValuC+173], v6, v8, s[54:55]   // 
v_and_or_b32 v172, v[vgprValuC+173], v7, v[vgprValuC+172] // pack two bf16 to dword
v_cmp_u_f32 s[54:55], v[vgprValuC+174], v[vgprValuC+174] // check Nan
v_bfe_u32 v6, v[vgprValuC+174], 16, 1              // Non-Nan case: store lsb of bf16
v_add3_u32 v6, v[vgprValuC+174], v6, v9            // Non-Nan case: add lsb and the increment for rounding
v_cndmask_b32 v[vgprValuC+174], v6, v8, s[54:55]   // 
v_lshrrev_b32 v[vgprValuC+174], 16, v[vgprValuC+174] // convert C to bf16
v_cmp_u_f32 s[54:55], v[vgprValuC+175], v[vgprValuC+175] // check Nan
v_bfe_u32 v6, v[vgprValuC+175], 16, 1              // Non-Nan case: store lsb of bf16
v_add3_u32 v6, v[vgprValuC+175], v6, v9            // Non-Nan case: add lsb and the increment for rounding
v_cndmask_b32 v[vgprValuC+175], v6, v8, s[54:55]   // 
v_and_or_b32 v173, v[vgprValuC+175], v7, v[vgprValuC+174] // pack two bf16 to dword
s_mul_i32 s54, s[sgprStrideD1J], 26                // scale StrideD *= numRows(13) * bpe
s_add_u32  s[sgprSrdD+0], s[sgprSrdD+0], s54       // incToNextRow: gra SRD += inc(lower)
s_addc_u32  s[sgprSrdD+1], s[sgprSrdD+1], 0        // incToNextRow: gra SRD += inc(upper)
_buffer_store_b64 v[172:173], v10, s[sgprSrdD:sgprSrdD+3], 0, offen, offset:0,  sc0 sc1 // store D
v_cmp_u_f32 s[54:55], v[vgprValuC+176], v[vgprValuC+176] // check Nan
v_bfe_u32 v6, v[vgprValuC+176], 16, 1              // Non-Nan case: store lsb of bf16
v_add3_u32 v6, v[vgprValuC+176], v6, v9            // Non-Nan case: add lsb and the increment for rounding
v_cndmask_b32 v[vgprValuC+176], v6, v8, s[54:55]   // 
v_lshrrev_b32 v[vgprValuC+176], 16, v[vgprValuC+176] // convert C to bf16
v_cmp_u_f32 s[54:55], v[vgprValuC+177], v[vgprValuC+177] // check Nan
v_bfe_u32 v6, v[vgprValuC+177], 16, 1              // Non-Nan case: store lsb of bf16
v_add3_u32 v6, v[vgprValuC+177], v6, v9            // Non-Nan case: add lsb and the increment for rounding
v_cndmask_b32 v[vgprValuC+177], v6, v8, s[54:55]   // 
v_and_or_b32 v176, v[vgprValuC+177], v7, v[vgprValuC+176] // pack two bf16 to dword
v_cmp_u_f32 s[54:55], v[vgprValuC+178], v[vgprValuC+178] // check Nan
v_bfe_u32 v6, v[vgprValuC+178], 16, 1              // Non-Nan case: store lsb of bf16
v_add3_u32 v6, v[vgprValuC+178], v6, v9            // Non-Nan case: add lsb and the increment for rounding
v_cndmask_b32 v[vgprValuC+178], v6, v8, s[54:55]   // 
v_lshrrev_b32 v[vgprValuC+178], 16, v[vgprValuC+178] // convert C to bf16
v_cmp_u_f32 s[54:55], v[vgprValuC+179], v[vgprValuC+179] // check Nan
v_bfe_u32 v6, v[vgprValuC+179], 16, 1              // Non-Nan case: store lsb of bf16
v_add3_u32 v6, v[vgprValuC+179], v6, v9            // Non-Nan case: add lsb and the increment for rounding
v_cndmask_b32 v[vgprValuC+179], v6, v8, s[54:55]   // 
v_and_or_b32 v177, v[vgprValuC+179], v7, v[vgprValuC+178] // pack two bf16 to dword
s_lshl_b32  s54, s[sgprStrideD1J], 1               // incToNextRow: Scale by BPE
s_add_u32  s[sgprSrdD+0], s[sgprSrdD+0], s54       // incToNextRow: gra SRD += inc(lower)
s_addc_u32  s[sgprSrdD+1], s[sgprSrdD+1], 0        // incToNextRow: gra SRD += inc(upper)
_buffer_store_b64 v[176:177], v10, s[sgprSrdD:sgprSrdD+3], 0, offen, offset:0,  sc0 sc1 // store D
v_cmp_u_f32 s[54:55], v[vgprValuC+180], v[vgprValuC+180] // check Nan
v_bfe_u32 v6, v[vgprValuC+180], 16, 1              // Non-Nan case: store lsb of bf16
v_add3_u32 v6, v[vgprValuC+180], v6, v9            // Non-Nan case: add lsb and the increment for rounding
v_cndmask_b32 v[vgprValuC+180], v6, v8, s[54:55]   // 
v_lshrrev_b32 v[vgprValuC+180], 16, v[vgprValuC+180] // convert C to bf16
v_cmp_u_f32 s[54:55], v[vgprValuC+181], v[vgprValuC+181] // check Nan
v_bfe_u32 v6, v[vgprValuC+181], 16, 1              // Non-Nan case: store lsb of bf16
v_add3_u32 v6, v[vgprValuC+181], v6, v9            // Non-Nan case: add lsb and the increment for rounding
v_cndmask_b32 v[vgprValuC+181], v6, v8, s[54:55]   // 
v_and_or_b32 v180, v[vgprValuC+181], v7, v[vgprValuC+180] // pack two bf16 to dword
v_cmp_u_f32 s[54:55], v[vgprValuC+182], v[vgprValuC+182] // check Nan
v_bfe_u32 v6, v[vgprValuC+182], 16, 1              // Non-Nan case: store lsb of bf16
v_add3_u32 v6, v[vgprValuC+182], v6, v9            // Non-Nan case: add lsb and the increment for rounding
v_cndmask_b32 v[vgprValuC+182], v6, v8, s[54:55]   // 
v_lshrrev_b32 v[vgprValuC+182], 16, v[vgprValuC+182] // convert C to bf16
v_cmp_u_f32 s[54:55], v[vgprValuC+183], v[vgprValuC+183] // check Nan
v_bfe_u32 v6, v[vgprValuC+183], 16, 1              // Non-Nan case: store lsb of bf16
v_add3_u32 v6, v[vgprValuC+183], v6, v9            // Non-Nan case: add lsb and the increment for rounding
v_cndmask_b32 v[vgprValuC+183], v6, v8, s[54:55]   // 
v_and_or_b32 v181, v[vgprValuC+183], v7, v[vgprValuC+182] // pack two bf16 to dword
s_lshl_b32  s54, s[sgprStrideD1J], 1               // incToNextRow: Scale by BPE
s_add_u32  s[sgprSrdD+0], s[sgprSrdD+0], s54       // incToNextRow: gra SRD += inc(lower)
s_addc_u32  s[sgprSrdD+1], s[sgprSrdD+1], 0        // incToNextRow: gra SRD += inc(upper)
_buffer_store_b64 v[180:181], v10, s[sgprSrdD:sgprSrdD+3], 0, offen, offset:0,  sc0 sc1 // store D
v_cmp_u_f32 s[54:55], v[vgprValuC+184], v[vgprValuC+184] // check Nan
v_bfe_u32 v6, v[vgprValuC+184], 16, 1              // Non-Nan case: store lsb of bf16
v_add3_u32 v6, v[vgprValuC+184], v6, v9            // Non-Nan case: add lsb and the increment for rounding
v_cndmask_b32 v[vgprValuC+184], v6, v8, s[54:55]   // 
v_lshrrev_b32 v[vgprValuC+184], 16, v[vgprValuC+184] // convert C to bf16
v_cmp_u_f32 s[54:55], v[vgprValuC+185], v[vgprValuC+185] // check Nan
v_bfe_u32 v6, v[vgprValuC+185], 16, 1              // Non-Nan case: store lsb of bf16
v_add3_u32 v6, v[vgprValuC+185], v6, v9            // Non-Nan case: add lsb and the increment for rounding
v_cndmask_b32 v[vgprValuC+185], v6, v8, s[54:55]   // 
v_and_or_b32 v184, v[vgprValuC+185], v7, v[vgprValuC+184] // pack two bf16 to dword
v_cmp_u_f32 s[54:55], v[vgprValuC+186], v[vgprValuC+186] // check Nan
v_bfe_u32 v6, v[vgprValuC+186], 16, 1              // Non-Nan case: store lsb of bf16
v_add3_u32 v6, v[vgprValuC+186], v6, v9            // Non-Nan case: add lsb and the increment for rounding
v_cndmask_b32 v[vgprValuC+186], v6, v8, s[54:55]   // 
v_lshrrev_b32 v[vgprValuC+186], 16, v[vgprValuC+186] // convert C to bf16
v_cmp_u_f32 s[54:55], v[vgprValuC+187], v[vgprValuC+187] // check Nan
v_bfe_u32 v6, v[vgprValuC+187], 16, 1              // Non-Nan case: store lsb of bf16
v_add3_u32 v6, v[vgprValuC+187], v6, v9            // Non-Nan case: add lsb and the increment for rounding
v_cndmask_b32 v[vgprValuC+187], v6, v8, s[54:55]   // 
v_and_or_b32 v185, v[vgprValuC+187], v7, v[vgprValuC+186] // pack two bf16 to dword
s_lshl_b32  s54, s[sgprStrideD1J], 1               // incToNextRow: Scale by BPE
s_add_u32  s[sgprSrdD+0], s[sgprSrdD+0], s54       // incToNextRow: gra SRD += inc(lower)
s_addc_u32  s[sgprSrdD+1], s[sgprSrdD+1], 0        // incToNextRow: gra SRD += inc(upper)
_buffer_store_b64 v[184:185], v10, s[sgprSrdD:sgprSrdD+3], 0, offen, offset:0,  sc0 sc1 // store D
v_cmp_u_f32 s[54:55], v[vgprValuC+188], v[vgprValuC+188] // check Nan
v_bfe_u32 v6, v[vgprValuC+188], 16, 1              // Non-Nan case: store lsb of bf16
v_add3_u32 v6, v[vgprValuC+188], v6, v9            // Non-Nan case: add lsb and the increment for rounding
v_cndmask_b32 v[vgprValuC+188], v6, v8, s[54:55]   // 
v_lshrrev_b32 v[vgprValuC+188], 16, v[vgprValuC+188] // convert C to bf16
v_cmp_u_f32 s[54:55], v[vgprValuC+189], v[vgprValuC+189] // check Nan
v_bfe_u32 v6, v[vgprValuC+189], 16, 1              // Non-Nan case: store lsb of bf16
v_add3_u32 v6, v[vgprValuC+189], v6, v9            // Non-Nan case: add lsb and the increment for rounding
v_cndmask_b32 v[vgprValuC+189], v6, v8, s[54:55]   // 
v_and_or_b32 v188, v[vgprValuC+189], v7, v[vgprValuC+188] // pack two bf16 to dword
v_cmp_u_f32 s[54:55], v[vgprValuC+190], v[vgprValuC+190] // check Nan
v_bfe_u32 v6, v[vgprValuC+190], 16, 1              // Non-Nan case: store lsb of bf16
v_add3_u32 v6, v[vgprValuC+190], v6, v9            // Non-Nan case: add lsb and the increment for rounding
v_cndmask_b32 v[vgprValuC+190], v6, v8, s[54:55]   // 
v_lshrrev_b32 v[vgprValuC+190], 16, v[vgprValuC+190] // convert C to bf16
v_cmp_u_f32 s[54:55], v[vgprValuC+191], v[vgprValuC+191] // check Nan
v_bfe_u32 v6, v[vgprValuC+191], 16, 1              // Non-Nan case: store lsb of bf16
v_add3_u32 v6, v[vgprValuC+191], v6, v9            // Non-Nan case: add lsb and the increment for rounding
v_cndmask_b32 v[vgprValuC+191], v6, v8, s[54:55]   // 
v_and_or_b32 v189, v[vgprValuC+191], v7, v[vgprValuC+190] // pack two bf16 to dword
s_mul_i32 s54, s[sgprStrideD1J], 26                // scale StrideD *= numRows(13) * bpe
s_add_u32  s[sgprSrdD+0], s[sgprSrdD+0], s54       // incToNextRow: gra SRD += inc(lower)
s_addc_u32  s[sgprSrdD+1], s[sgprSrdD+1], 0        // incToNextRow: gra SRD += inc(upper)
_buffer_store_b64 v[188:189], v10, s[sgprSrdD:sgprSrdD+3], 0, offen, offset:0,  sc0 sc1 // store D
v_cmp_u_f32 s[54:55], v[vgprValuC+192], v[vgprValuC+192] // check Nan
v_bfe_u32 v6, v[vgprValuC+192], 16, 1              // Non-Nan case: store lsb of bf16
v_add3_u32 v6, v[vgprValuC+192], v6, v9            // Non-Nan case: add lsb and the increment for rounding
v_cndmask_b32 v[vgprValuC+192], v6, v8, s[54:55]   // 
v_lshrrev_b32 v[vgprValuC+192], 16, v[vgprValuC+192] // convert C to bf16
v_cmp_u_f32 s[54:55], v[vgprValuC+193], v[vgprValuC+193] // check Nan
v_bfe_u32 v6, v[vgprValuC+193], 16, 1              // Non-Nan case: store lsb of bf16
v_add3_u32 v6, v[vgprValuC+193], v6, v9            // Non-Nan case: add lsb and the increment for rounding
v_cndmask_b32 v[vgprValuC+193], v6, v8, s[54:55]   // 
v_and_or_b32 v192, v[vgprValuC+193], v7, v[vgprValuC+192] // pack two bf16 to dword
v_cmp_u_f32 s[54:55], v[vgprValuC+194], v[vgprValuC+194] // check Nan
v_bfe_u32 v6, v[vgprValuC+194], 16, 1              // Non-Nan case: store lsb of bf16
v_add3_u32 v6, v[vgprValuC+194], v6, v9            // Non-Nan case: add lsb and the increment for rounding
v_cndmask_b32 v[vgprValuC+194], v6, v8, s[54:55]   // 
v_lshrrev_b32 v[vgprValuC+194], 16, v[vgprValuC+194] // convert C to bf16
v_cmp_u_f32 s[54:55], v[vgprValuC+195], v[vgprValuC+195] // check Nan
v_bfe_u32 v6, v[vgprValuC+195], 16, 1              // Non-Nan case: store lsb of bf16
v_add3_u32 v6, v[vgprValuC+195], v6, v9            // Non-Nan case: add lsb and the increment for rounding
v_cndmask_b32 v[vgprValuC+195], v6, v8, s[54:55]   // 
v_and_or_b32 v193, v[vgprValuC+195], v7, v[vgprValuC+194] // pack two bf16 to dword
s_lshl_b32  s54, s[sgprStrideD1J], 1               // incToNextRow: Scale by BPE
s_add_u32  s[sgprSrdD+0], s[sgprSrdD+0], s54       // incToNextRow: gra SRD += inc(lower)
s_addc_u32  s[sgprSrdD+1], s[sgprSrdD+1], 0        // incToNextRow: gra SRD += inc(upper)
_buffer_store_b64 v[192:193], v10, s[sgprSrdD:sgprSrdD+3], 0, offen, offset:0,  sc0 sc1 // store D
v_cmp_u_f32 s[54:55], v[vgprValuC+196], v[vgprValuC+196] // check Nan
v_bfe_u32 v6, v[vgprValuC+196], 16, 1              // Non-Nan case: store lsb of bf16
v_add3_u32 v6, v[vgprValuC+196], v6, v9            // Non-Nan case: add lsb and the increment for rounding
v_cndmask_b32 v[vgprValuC+196], v6, v8, s[54:55]   // 
v_lshrrev_b32 v[vgprValuC+196], 16, v[vgprValuC+196] // convert C to bf16
v_cmp_u_f32 s[54:55], v[vgprValuC+197], v[vgprValuC+197] // check Nan
v_bfe_u32 v6, v[vgprValuC+197], 16, 1              // Non-Nan case: store lsb of bf16
v_add3_u32 v6, v[vgprValuC+197], v6, v9            // Non-Nan case: add lsb and the increment for rounding
v_cndmask_b32 v[vgprValuC+197], v6, v8, s[54:55]   // 
v_and_or_b32 v196, v[vgprValuC+197], v7, v[vgprValuC+196] // pack two bf16 to dword
v_cmp_u_f32 s[54:55], v[vgprValuC+198], v[vgprValuC+198] // check Nan
v_bfe_u32 v6, v[vgprValuC+198], 16, 1              // Non-Nan case: store lsb of bf16
v_add3_u32 v6, v[vgprValuC+198], v6, v9            // Non-Nan case: add lsb and the increment for rounding
v_cndmask_b32 v[vgprValuC+198], v6, v8, s[54:55]   // 
v_lshrrev_b32 v[vgprValuC+198], 16, v[vgprValuC+198] // convert C to bf16
v_cmp_u_f32 s[54:55], v[vgprValuC+199], v[vgprValuC+199] // check Nan
v_bfe_u32 v6, v[vgprValuC+199], 16, 1              // Non-Nan case: store lsb of bf16
v_add3_u32 v6, v[vgprValuC+199], v6, v9            // Non-Nan case: add lsb and the increment for rounding
v_cndmask_b32 v[vgprValuC+199], v6, v8, s[54:55]   // 
v_and_or_b32 v197, v[vgprValuC+199], v7, v[vgprValuC+198] // pack two bf16 to dword
s_lshl_b32  s54, s[sgprStrideD1J], 1               // incToNextRow: Scale by BPE
	;; [unrolled: 24-line block ×3, first 2 shown]
s_add_u32  s[sgprSrdD+0], s[sgprSrdD+0], s54       // incToNextRow: gra SRD += inc(lower)
s_addc_u32  s[sgprSrdD+1], s[sgprSrdD+1], 0        // incToNextRow: gra SRD += inc(upper)
_buffer_store_b64 v[200:201], v10, s[sgprSrdD:sgprSrdD+3], 0, offen, offset:0,  sc0 sc1 // store D
v_cmp_u_f32 s[54:55], v[vgprValuC+204], v[vgprValuC+204] // check Nan
v_bfe_u32 v6, v[vgprValuC+204], 16, 1              // Non-Nan case: store lsb of bf16
v_add3_u32 v6, v[vgprValuC+204], v6, v9            // Non-Nan case: add lsb and the increment for rounding
v_cndmask_b32 v[vgprValuC+204], v6, v8, s[54:55]   // 
v_lshrrev_b32 v[vgprValuC+204], 16, v[vgprValuC+204] // convert C to bf16
v_cmp_u_f32 s[54:55], v[vgprValuC+205], v[vgprValuC+205] // check Nan
v_bfe_u32 v6, v[vgprValuC+205], 16, 1              // Non-Nan case: store lsb of bf16
v_add3_u32 v6, v[vgprValuC+205], v6, v9            // Non-Nan case: add lsb and the increment for rounding
v_cndmask_b32 v[vgprValuC+205], v6, v8, s[54:55]   // 
v_and_or_b32 v204, v[vgprValuC+205], v7, v[vgprValuC+204] // pack two bf16 to dword
v_cmp_u_f32 s[54:55], v[vgprValuC+206], v[vgprValuC+206] // check Nan
v_bfe_u32 v6, v[vgprValuC+206], 16, 1              // Non-Nan case: store lsb of bf16
v_add3_u32 v6, v[vgprValuC+206], v6, v9            // Non-Nan case: add lsb and the increment for rounding
v_cndmask_b32 v[vgprValuC+206], v6, v8, s[54:55]   // 
v_lshrrev_b32 v[vgprValuC+206], 16, v[vgprValuC+206] // convert C to bf16
v_cmp_u_f32 s[54:55], v[vgprValuC+207], v[vgprValuC+207] // check Nan
v_bfe_u32 v6, v[vgprValuC+207], 16, 1              // Non-Nan case: store lsb of bf16
v_add3_u32 v6, v[vgprValuC+207], v6, v9            // Non-Nan case: add lsb and the increment for rounding
v_cndmask_b32 v[vgprValuC+207], v6, v8, s[54:55]   // 
v_and_or_b32 v205, v[vgprValuC+207], v7, v[vgprValuC+206] // pack two bf16 to dword
s_mul_i32 s54, s[sgprStrideD1J], 26                // scale StrideD *= numRows(13) * bpe
s_add_u32  s[sgprSrdD+0], s[sgprSrdD+0], s54       // incToNextRow: gra SRD += inc(lower)
s_addc_u32  s[sgprSrdD+1], s[sgprSrdD+1], 0        // incToNextRow: gra SRD += inc(upper)
_buffer_store_b64 v[204:205], v10, s[sgprSrdD:sgprSrdD+3], 0, offen, offset:0,  sc0 sc1 // store D
v_cmp_u_f32 s[54:55], v[vgprValuC+208], v[vgprValuC+208] // check Nan
v_bfe_u32 v6, v[vgprValuC+208], 16, 1              // Non-Nan case: store lsb of bf16
v_add3_u32 v6, v[vgprValuC+208], v6, v9            // Non-Nan case: add lsb and the increment for rounding
v_cndmask_b32 v[vgprValuC+208], v6, v8, s[54:55]   // 
v_lshrrev_b32 v[vgprValuC+208], 16, v[vgprValuC+208] // convert C to bf16
v_cmp_u_f32 s[54:55], v[vgprValuC+209], v[vgprValuC+209] // check Nan
v_bfe_u32 v6, v[vgprValuC+209], 16, 1              // Non-Nan case: store lsb of bf16
v_add3_u32 v6, v[vgprValuC+209], v6, v9            // Non-Nan case: add lsb and the increment for rounding
v_cndmask_b32 v[vgprValuC+209], v6, v8, s[54:55]   // 
v_and_or_b32 v208, v[vgprValuC+209], v7, v[vgprValuC+208] // pack two bf16 to dword
v_cmp_u_f32 s[54:55], v[vgprValuC+210], v[vgprValuC+210] // check Nan
v_bfe_u32 v6, v[vgprValuC+210], 16, 1              // Non-Nan case: store lsb of bf16
v_add3_u32 v6, v[vgprValuC+210], v6, v9            // Non-Nan case: add lsb and the increment for rounding
v_cndmask_b32 v[vgprValuC+210], v6, v8, s[54:55]   // 
v_lshrrev_b32 v[vgprValuC+210], 16, v[vgprValuC+210] // convert C to bf16
v_cmp_u_f32 s[54:55], v[vgprValuC+211], v[vgprValuC+211] // check Nan
v_bfe_u32 v6, v[vgprValuC+211], 16, 1              // Non-Nan case: store lsb of bf16
v_add3_u32 v6, v[vgprValuC+211], v6, v9            // Non-Nan case: add lsb and the increment for rounding
v_cndmask_b32 v[vgprValuC+211], v6, v8, s[54:55]   // 
v_and_or_b32 v209, v[vgprValuC+211], v7, v[vgprValuC+210] // pack two bf16 to dword
s_lshl_b32  s54, s[sgprStrideD1J], 1               // incToNextRow: Scale by BPE
s_add_u32  s[sgprSrdD+0], s[sgprSrdD+0], s54       // incToNextRow: gra SRD += inc(lower)
s_addc_u32  s[sgprSrdD+1], s[sgprSrdD+1], 0        // incToNextRow: gra SRD += inc(upper)
_buffer_store_b64 v[208:209], v10, s[sgprSrdD:sgprSrdD+3], 0, offen, offset:0,  sc0 sc1 // store D
v_cmp_u_f32 s[54:55], v[vgprValuC+212], v[vgprValuC+212] // check Nan
v_bfe_u32 v6, v[vgprValuC+212], 16, 1              // Non-Nan case: store lsb of bf16
v_add3_u32 v6, v[vgprValuC+212], v6, v9            // Non-Nan case: add lsb and the increment for rounding
v_cndmask_b32 v[vgprValuC+212], v6, v8, s[54:55]   // 
v_lshrrev_b32 v[vgprValuC+212], 16, v[vgprValuC+212] // convert C to bf16
v_cmp_u_f32 s[54:55], v[vgprValuC+213], v[vgprValuC+213] // check Nan
v_bfe_u32 v6, v[vgprValuC+213], 16, 1              // Non-Nan case: store lsb of bf16
v_add3_u32 v6, v[vgprValuC+213], v6, v9            // Non-Nan case: add lsb and the increment for rounding
v_cndmask_b32 v[vgprValuC+213], v6, v8, s[54:55]   // 
v_and_or_b32 v212, v[vgprValuC+213], v7, v[vgprValuC+212] // pack two bf16 to dword
v_cmp_u_f32 s[54:55], v[vgprValuC+214], v[vgprValuC+214] // check Nan
v_bfe_u32 v6, v[vgprValuC+214], 16, 1              // Non-Nan case: store lsb of bf16
v_add3_u32 v6, v[vgprValuC+214], v6, v9            // Non-Nan case: add lsb and the increment for rounding
v_cndmask_b32 v[vgprValuC+214], v6, v8, s[54:55]   // 
v_lshrrev_b32 v[vgprValuC+214], 16, v[vgprValuC+214] // convert C to bf16
v_cmp_u_f32 s[54:55], v[vgprValuC+215], v[vgprValuC+215] // check Nan
v_bfe_u32 v6, v[vgprValuC+215], 16, 1              // Non-Nan case: store lsb of bf16
v_add3_u32 v6, v[vgprValuC+215], v6, v9            // Non-Nan case: add lsb and the increment for rounding
v_cndmask_b32 v[vgprValuC+215], v6, v8, s[54:55]   // 
v_and_or_b32 v213, v[vgprValuC+215], v7, v[vgprValuC+214] // pack two bf16 to dword
s_lshl_b32  s54, s[sgprStrideD1J], 1               // incToNextRow: Scale by BPE
	;; [unrolled: 24-line block ×3, first 2 shown]
s_add_u32  s[sgprSrdD+0], s[sgprSrdD+0], s54       // incToNextRow: gra SRD += inc(lower)
s_addc_u32  s[sgprSrdD+1], s[sgprSrdD+1], 0        // incToNextRow: gra SRD += inc(upper)
_buffer_store_b64 v[216:217], v10, s[sgprSrdD:sgprSrdD+3], 0, offen, offset:0,  sc0 sc1 // store D
v_cmp_u_f32 s[54:55], v[vgprValuC+220], v[vgprValuC+220] // check Nan
v_bfe_u32 v6, v[vgprValuC+220], 16, 1              // Non-Nan case: store lsb of bf16
v_add3_u32 v6, v[vgprValuC+220], v6, v9            // Non-Nan case: add lsb and the increment for rounding
v_cndmask_b32 v[vgprValuC+220], v6, v8, s[54:55]   // 
v_lshrrev_b32 v[vgprValuC+220], 16, v[vgprValuC+220] // convert C to bf16
v_cmp_u_f32 s[54:55], v[vgprValuC+221], v[vgprValuC+221] // check Nan
v_bfe_u32 v6, v[vgprValuC+221], 16, 1              // Non-Nan case: store lsb of bf16
v_add3_u32 v6, v[vgprValuC+221], v6, v9            // Non-Nan case: add lsb and the increment for rounding
v_cndmask_b32 v[vgprValuC+221], v6, v8, s[54:55]   // 
v_and_or_b32 v220, v[vgprValuC+221], v7, v[vgprValuC+220] // pack two bf16 to dword
v_cmp_u_f32 s[54:55], v[vgprValuC+222], v[vgprValuC+222] // check Nan
v_bfe_u32 v6, v[vgprValuC+222], 16, 1              // Non-Nan case: store lsb of bf16
v_add3_u32 v6, v[vgprValuC+222], v6, v9            // Non-Nan case: add lsb and the increment for rounding
v_cndmask_b32 v[vgprValuC+222], v6, v8, s[54:55]   // 
v_lshrrev_b32 v[vgprValuC+222], 16, v[vgprValuC+222] // convert C to bf16
v_cmp_u_f32 s[54:55], v[vgprValuC+223], v[vgprValuC+223] // check Nan
v_bfe_u32 v6, v[vgprValuC+223], 16, 1              // Non-Nan case: store lsb of bf16
v_add3_u32 v6, v[vgprValuC+223], v6, v9            // Non-Nan case: add lsb and the increment for rounding
v_cndmask_b32 v[vgprValuC+223], v6, v8, s[54:55]   // 
v_and_or_b32 v221, v[vgprValuC+223], v7, v[vgprValuC+222] // pack two bf16 to dword
s_mul_i32 s54, s[sgprStrideD1J], 26                // scale StrideD *= numRows(13) * bpe
s_add_u32  s[sgprSrdD+0], s[sgprSrdD+0], s54       // incToNextRow: gra SRD += inc(lower)
s_addc_u32  s[sgprSrdD+1], s[sgprSrdD+1], 0        // incToNextRow: gra SRD += inc(upper)
_buffer_store_b64 v[220:221], v10, s[sgprSrdD:sgprSrdD+3], 0, offen, offset:0,  sc0 sc1 // store D
v_cmp_u_f32 s[54:55], v[vgprValuC+224], v[vgprValuC+224] // check Nan
v_bfe_u32 v6, v[vgprValuC+224], 16, 1              // Non-Nan case: store lsb of bf16
v_add3_u32 v6, v[vgprValuC+224], v6, v9            // Non-Nan case: add lsb and the increment for rounding
v_cndmask_b32 v[vgprValuC+224], v6, v8, s[54:55]   // 
v_lshrrev_b32 v[vgprValuC+224], 16, v[vgprValuC+224] // convert C to bf16
v_cmp_u_f32 s[54:55], v[vgprValuC+225], v[vgprValuC+225] // check Nan
v_bfe_u32 v6, v[vgprValuC+225], 16, 1              // Non-Nan case: store lsb of bf16
v_add3_u32 v6, v[vgprValuC+225], v6, v9            // Non-Nan case: add lsb and the increment for rounding
v_cndmask_b32 v[vgprValuC+225], v6, v8, s[54:55]   // 
v_and_or_b32 v224, v[vgprValuC+225], v7, v[vgprValuC+224] // pack two bf16 to dword
v_cmp_u_f32 s[54:55], v[vgprValuC+226], v[vgprValuC+226] // check Nan
v_bfe_u32 v6, v[vgprValuC+226], 16, 1              // Non-Nan case: store lsb of bf16
v_add3_u32 v6, v[vgprValuC+226], v6, v9            // Non-Nan case: add lsb and the increment for rounding
v_cndmask_b32 v[vgprValuC+226], v6, v8, s[54:55]   // 
v_lshrrev_b32 v[vgprValuC+226], 16, v[vgprValuC+226] // convert C to bf16
v_cmp_u_f32 s[54:55], v[vgprValuC+227], v[vgprValuC+227] // check Nan
v_bfe_u32 v6, v[vgprValuC+227], 16, 1              // Non-Nan case: store lsb of bf16
v_add3_u32 v6, v[vgprValuC+227], v6, v9            // Non-Nan case: add lsb and the increment for rounding
v_cndmask_b32 v[vgprValuC+227], v6, v8, s[54:55]   // 
v_and_or_b32 v225, v[vgprValuC+227], v7, v[vgprValuC+226] // pack two bf16 to dword
s_lshl_b32  s54, s[sgprStrideD1J], 1               // incToNextRow: Scale by BPE
s_add_u32  s[sgprSrdD+0], s[sgprSrdD+0], s54       // incToNextRow: gra SRD += inc(lower)
s_addc_u32  s[sgprSrdD+1], s[sgprSrdD+1], 0        // incToNextRow: gra SRD += inc(upper)
_buffer_store_b64 v[224:225], v10, s[sgprSrdD:sgprSrdD+3], 0, offen, offset:0,  sc0 sc1 // store D
v_cmp_u_f32 s[54:55], v[vgprValuC+228], v[vgprValuC+228] // check Nan
v_bfe_u32 v6, v[vgprValuC+228], 16, 1              // Non-Nan case: store lsb of bf16
v_add3_u32 v6, v[vgprValuC+228], v6, v9            // Non-Nan case: add lsb and the increment for rounding
v_cndmask_b32 v[vgprValuC+228], v6, v8, s[54:55]   // 
v_lshrrev_b32 v[vgprValuC+228], 16, v[vgprValuC+228] // convert C to bf16
v_cmp_u_f32 s[54:55], v[vgprValuC+229], v[vgprValuC+229] // check Nan
v_bfe_u32 v6, v[vgprValuC+229], 16, 1              // Non-Nan case: store lsb of bf16
v_add3_u32 v6, v[vgprValuC+229], v6, v9            // Non-Nan case: add lsb and the increment for rounding
v_cndmask_b32 v[vgprValuC+229], v6, v8, s[54:55]   // 
v_and_or_b32 v228, v[vgprValuC+229], v7, v[vgprValuC+228] // pack two bf16 to dword
v_cmp_u_f32 s[54:55], v[vgprValuC+230], v[vgprValuC+230] // check Nan
v_bfe_u32 v6, v[vgprValuC+230], 16, 1              // Non-Nan case: store lsb of bf16
v_add3_u32 v6, v[vgprValuC+230], v6, v9            // Non-Nan case: add lsb and the increment for rounding
v_cndmask_b32 v[vgprValuC+230], v6, v8, s[54:55]   // 
v_lshrrev_b32 v[vgprValuC+230], 16, v[vgprValuC+230] // convert C to bf16
v_cmp_u_f32 s[54:55], v[vgprValuC+231], v[vgprValuC+231] // check Nan
v_bfe_u32 v6, v[vgprValuC+231], 16, 1              // Non-Nan case: store lsb of bf16
v_add3_u32 v6, v[vgprValuC+231], v6, v9            // Non-Nan case: add lsb and the increment for rounding
v_cndmask_b32 v[vgprValuC+231], v6, v8, s[54:55]   // 
v_and_or_b32 v229, v[vgprValuC+231], v7, v[vgprValuC+230] // pack two bf16 to dword
s_lshl_b32  s54, s[sgprStrideD1J], 1               // incToNextRow: Scale by BPE
	;; [unrolled: 24-line block ×3, first 2 shown]
s_add_u32  s[sgprSrdD+0], s[sgprSrdD+0], s54       // incToNextRow: gra SRD += inc(lower)
s_addc_u32  s[sgprSrdD+1], s[sgprSrdD+1], 0        // incToNextRow: gra SRD += inc(upper)
_buffer_store_b64 v[232:233], v10, s[sgprSrdD:sgprSrdD+3], 0, offen, offset:0,  sc0 sc1 // store D
s_nop 0                                            // 1 wait state required when next inst writes vgprs held by previous dwordx4 store inst
s_branch label_GW_End_23                           // jump to end
label_GW_End_23:

s_endpgm                                           // Kernel End
OptNLL_End_17:


/******************************************/
/* Ord. NoLoadLoop - Begin                                      */
/******************************************/


	;; [unrolled: 1-line block ×4, first 2 shown]
/* iter 0 (last unrolled loop) */

/*  grEndMfmaIndex:0, lwStartMfmaIndex:183, lwEndMfmaIndex:183  */
/*  numMfmaForLR:35, barrierMfmaIndex:188, LocalWritePerMfma:0.250 */
/*  mfmaIndex:0  */
s_waitcnt lgkmcnt(0)                               // lgkmcnt=0 vmcnt=-1wait for prior local read local write old=0, new=0 newLW=0 newLR=0
/* pack scheduling: packAIdx:2, packBIdx:0 */
v_or_b32 v[vgprValuA_X0_I0+0], v[vgprValuA_X0_I0+0], v[vgprValuA_X0_I0_D1+0] // pack two half Vgpr to one Vgpr
v_or_b32 v[vgprValuA_X0_I0+1], v[vgprValuA_X0_I0+1], v[vgprValuA_X0_I0_D1+1] // pack two half Vgpr to one Vgpr
	;; [unrolled: 1-line block ×4, first 2 shown]
v_mfma_f32_16x16x16_bf16 a[0+0:3+0], v[vgprValuB_X0_I0+0+0+0:vgprValuB_X0_I0+0+0+0+1], v[vgprValuA_X0_I0+0+0+0:vgprValuA_X0_I0+0+0+0+1], a[0:3]
/*  mfmaIndex:1  */
_ds_load_u16 v[vgprValuA_X1_I0+0], v[vgprLocalReadAddrA] offset:8192 // L -> Reg lro=4096 swapByteOffset=0 ti=256 vIdx=0 rIdx=0 oIdx=0 buffer=1 iui=0
/* pack scheduling: packAIdx:4, packBIdx:0 */
v_or_b32 v[vgprValuA_X0_I0+4], v[vgprValuA_X0_I0+4], v[vgprValuA_X0_I0_D1+4] // pack two half Vgpr to one Vgpr
v_or_b32 v[vgprValuA_X0_I0+5], v[vgprValuA_X0_I0+5], v[vgprValuA_X0_I0_D1+5] // pack two half Vgpr to one Vgpr
v_mfma_f32_16x16x16_bf16 a[4+0:7+0], v[vgprValuB_X0_I0+0+0+0:vgprValuB_X0_I0+0+0+0+1], v[vgprValuA_X0_I0+2+0+0:vgprValuA_X0_I0+2+0+0+1], a[4:7]
/*  mfmaIndex:2  */
_ds_load_u16_d16_hi v[vgprValuA_X1_I0_D1+0], v[vgprLocalReadAddrA] offset:8704 // L -> Reg lro=4096 swapByteOffset=0 ti=256 vIdx=0 rIdx=1 oIdx=0 buffer=1 iui=0
/* pack scheduling: packAIdx:6, packBIdx:0 */
v_or_b32 v[vgprValuA_X0_I0+6], v[vgprValuA_X0_I0+6], v[vgprValuA_X0_I0_D1+6] // pack two half Vgpr to one Vgpr
v_or_b32 v[vgprValuA_X0_I0+7], v[vgprValuA_X0_I0+7], v[vgprValuA_X0_I0_D1+7] // pack two half Vgpr to one Vgpr
v_mfma_f32_16x16x16_bf16 a[8+0:11+0], v[vgprValuB_X0_I0+0+0+0:vgprValuB_X0_I0+0+0+0+1], v[vgprValuA_X0_I0+4+0+0:vgprValuA_X0_I0+4+0+0+1], a[8:11]
/*  mfmaIndex:3  */
_ds_load_u16 v[vgprValuA_X1_I0+1], v[vgprLocalReadAddrA] offset:9216 // L -> Reg lro=4096 swapByteOffset=0 ti=256 vIdx=0 rIdx=2 oIdx=0 buffer=1 iui=0
v_mfma_f32_16x16x16_bf16 a[12+0:15+0], v[vgprValuB_X0_I0+0+0+0:vgprValuB_X0_I0+0+0+0+1], v[vgprValuA_X0_I0+6+0+0:vgprValuA_X0_I0+6+0+0+1], a[12:15]
/*  mfmaIndex:4  */
_ds_load_u16_d16_hi v[vgprValuA_X1_I0_D1+1], v[vgprLocalReadAddrA] offset:9728 // L -> Reg lro=4096 swapByteOffset=0 ti=256 vIdx=0 rIdx=3 oIdx=0 buffer=1 iui=0
v_mfma_f32_16x16x16_bf16 a[28+0:31+0], v[vgprValuB_X0_I0+2+0+0:vgprValuB_X0_I0+2+0+0+1], v[vgprValuA_X0_I0+6+0+0:vgprValuA_X0_I0+6+0+0+1], a[28:31]
/*  mfmaIndex:5  */
_ds_load_b64 v[vgprValuB_X1_I0+0:vgprValuB_X1_I0+0+1], v[vgprLocalReadAddrB] offset:32 // L -> Reg lro=16 swapByteOffset=0 ti=16 vIdx=0 rIdx=0 oIdx=0 buffer=1 iui=0
v_mfma_f32_16x16x16_bf16 a[24+0:27+0], v[vgprValuB_X0_I0+2+0+0:vgprValuB_X0_I0+2+0+0+1], v[vgprValuA_X0_I0+4+0+0:vgprValuA_X0_I0+4+0+0+1], a[24:27]
/*  mfmaIndex:6  */
_ds_load_u16 v[vgprValuA_X1_I0+2], v[vgprLocalReadAddrA] offset:8194 // L -> Reg lro=4096 swapByteOffset=0 ti=256 vIdx=0 rIdx=0 oIdx=0 buffer=1 iui=0
v_mfma_f32_16x16x16_bf16 a[20+0:23+0], v[vgprValuB_X0_I0+2+0+0:vgprValuB_X0_I0+2+0+0+1], v[vgprValuA_X0_I0+2+0+0:vgprValuA_X0_I0+2+0+0+1], a[20:23]
/*  mfmaIndex:7  */
_ds_load_u16_d16_hi v[vgprValuA_X1_I0_D1+2], v[vgprLocalReadAddrA] offset:8706 // L -> Reg lro=4096 swapByteOffset=0 ti=256 vIdx=0 rIdx=1 oIdx=0 buffer=1 iui=0
v_mfma_f32_16x16x16_bf16 a[16+0:19+0], v[vgprValuB_X0_I0+2+0+0:vgprValuB_X0_I0+2+0+0+1], v[vgprValuA_X0_I0+0+0+0:vgprValuA_X0_I0+0+0+0+1], a[16:19]
/*  mfmaIndex:8  */
_ds_load_u16 v[vgprValuA_X1_I0+3], v[vgprLocalReadAddrA] offset:9218 // L -> Reg lro=4096 swapByteOffset=0 ti=256 vIdx=0 rIdx=2 oIdx=0 buffer=1 iui=0
v_mfma_f32_16x16x16_bf16 a[32+0:35+0], v[vgprValuB_X0_I0+4+0+0:vgprValuB_X0_I0+4+0+0+1], v[vgprValuA_X0_I0+0+0+0:vgprValuA_X0_I0+0+0+0+1], a[32:35]
/*  mfmaIndex:9  */
_ds_load_u16_d16_hi v[vgprValuA_X1_I0_D1+3], v[vgprLocalReadAddrA] offset:9730 // L -> Reg lro=4096 swapByteOffset=0 ti=256 vIdx=0 rIdx=3 oIdx=0 buffer=1 iui=0
	;; [unrolled: 6-line block ×6, first 2 shown]
v_mfma_f32_16x16x16_bf16 a[68+0:71+0], v[vgprValuB_X0_I0+8+0+0:vgprValuB_X0_I0+8+0+0+1], v[vgprValuA_X0_I0+2+0+0:vgprValuA_X0_I0+2+0+0+1], a[68:71]
/*  mfmaIndex:18  */
_ds_load_b64 v[vgprValuB_X1_I0+2:vgprValuB_X1_I0+2+1], v[vgprLocalReadAddrB] offset:2208 // L -> Reg lro=16 swapByteOffset=0 ti=16 vIdx=1 rIdx=0 oIdx=0 buffer=1 iui=0
v_mfma_f32_16x16x16_bf16 a[72+0:75+0], v[vgprValuB_X0_I0+8+0+0:vgprValuB_X0_I0+8+0+0+1], v[vgprValuA_X0_I0+4+0+0:vgprValuA_X0_I0+4+0+0+1], a[72:75]
/*  mfmaIndex:19  */
_ds_load_b64 v[vgprValuB_X1_I0+4:vgprValuB_X1_I0+4+1], v[vgprLocalReadAddrB] offset:4384 // L -> Reg lro=16 swapByteOffset=0 ti=16 vIdx=2 rIdx=0 oIdx=0 buffer=1 iui=0
	;; [unrolled: 3-line block ×13, first 2 shown]
v_mfma_f32_16x16x16_bf16 a[116+0:119+0], v[vgprValuB_X0_I0+14+0+0:vgprValuB_X0_I0+14+0+0+1], v[vgprValuA_X0_I0+2+0+0:vgprValuA_X0_I0+2+0+0+1], a[116:119]
/*  mfmaIndex:31  */
/* localReadsVacancy: latencyLeft 2 */
_ds_load_u16 v[vgprValuA_X2_I0+0], v[vgprLocalReadAddrA] offset:16384 // L -> Reg lro=8192 swapByteOffset=0 ti=256 vIdx=0 rIdx=0 oIdx=0 buffer=2 iui=0
v_mfma_f32_16x16x16_bf16 a[112+0:115+0], v[vgprValuB_X0_I0+14+0+0:vgprValuB_X0_I0+14+0+0+1], v[vgprValuA_X0_I0+0+0+0:vgprValuA_X0_I0+0+0+0+1], a[112:115]
/*  mfmaIndex:32  */
/* localReadsVacancy: latencyLeft 2 */
_ds_load_u16_d16_hi v[vgprValuA_X2_I0_D1+0], v[vgprLocalReadAddrA] offset:16896 // L -> Reg lro=8192 swapByteOffset=0 ti=256 vIdx=0 rIdx=1 oIdx=0 buffer=2 iui=0
v_mfma_f32_16x16x16_bf16 a[128+0:131+0], v[vgprValuB_X0_I0+16+0+0:vgprValuB_X0_I0+16+0+0+1], v[vgprValuA_X0_I0+0+0+0:vgprValuA_X0_I0+0+0+0+1], a[128:131]
/*  mfmaIndex:33  */
/* localReadsVacancy: latencyLeft 2 */
_ds_load_u16 v[vgprValuA_X2_I0+1], v[vgprLocalReadAddrA] offset:17408 // L -> Reg lro=8192 swapByteOffset=0 ti=256 vIdx=0 rIdx=2 oIdx=0 buffer=2 iui=0
v_mfma_f32_16x16x16_bf16 a[132+0:135+0], v[vgprValuB_X0_I0+16+0+0:vgprValuB_X0_I0+16+0+0+1], v[vgprValuA_X0_I0+2+0+0:vgprValuA_X0_I0+2+0+0+1], a[132:135]
/*  mfmaIndex:34  */
/* localReadsVacancy: latencyLeft 2 */
_ds_load_u16_d16_hi v[vgprValuA_X2_I0_D1+1], v[vgprLocalReadAddrA] offset:17920 // L -> Reg lro=8192 swapByteOffset=0 ti=256 vIdx=0 rIdx=3 oIdx=0 buffer=2 iui=0
v_mfma_f32_16x16x16_bf16 a[136+0:139+0], v[vgprValuB_X0_I0+16+0+0:vgprValuB_X0_I0+16+0+0+1], v[vgprValuA_X0_I0+4+0+0:vgprValuA_X0_I0+4+0+0+1], a[136:139]
/*  mfmaIndex:35  */
/* localReadsVacancy: latencyLeft 2 */
_ds_load_b64 v[vgprValuB_X2_I0+0:vgprValuB_X2_I0+0+1], v[vgprLocalReadAddrB] offset:64 // L -> Reg lro=32 swapByteOffset=0 ti=16 vIdx=0 rIdx=0 oIdx=0 buffer=2 iui=0
v_mfma_f32_16x16x16_bf16 a[140+0:143+0], v[vgprValuB_X0_I0+16+0+0:vgprValuB_X0_I0+16+0+0+1], v[vgprValuA_X0_I0+6+0+0:vgprValuA_X0_I0+6+0+0+1], a[140:143]
/*  mfmaIndex:36  */
/* localReadsVacancy: latencyLeft 2 */
_ds_load_u16 v[vgprValuA_X2_I0+2], v[vgprLocalReadAddrA] offset:16386 // L -> Reg lro=8192 swapByteOffset=0 ti=256 vIdx=0 rIdx=0 oIdx=0 buffer=2 iui=0
v_mfma_f32_16x16x16_bf16 a[156+0:159+0], v[vgprValuB_X0_I0+18+0+0:vgprValuB_X0_I0+18+0+0+1], v[vgprValuA_X0_I0+6+0+0:vgprValuA_X0_I0+6+0+0+1], a[156:159]
/*  mfmaIndex:37  */
/* localReadsVacancy: latencyLeft 2 */
_ds_load_u16_d16_hi v[vgprValuA_X2_I0_D1+2], v[vgprLocalReadAddrA] offset:16898 // L -> Reg lro=8192 swapByteOffset=0 ti=256 vIdx=0 rIdx=1 oIdx=0 buffer=2 iui=0
v_mfma_f32_16x16x16_bf16 a[152+0:155+0], v[vgprValuB_X0_I0+18+0+0:vgprValuB_X0_I0+18+0+0+1], v[vgprValuA_X0_I0+4+0+0:vgprValuA_X0_I0+4+0+0+1], a[152:155]
/*  mfmaIndex:38  */
/* localReadsVacancy: latencyLeft 2 */
_ds_load_u16 v[vgprValuA_X2_I0+3], v[vgprLocalReadAddrA] offset:17410 // L -> Reg lro=8192 swapByteOffset=0 ti=256 vIdx=0 rIdx=2 oIdx=0 buffer=2 iui=0
v_mfma_f32_16x16x16_bf16 a[148+0:151+0], v[vgprValuB_X0_I0+18+0+0:vgprValuB_X0_I0+18+0+0+1], v[vgprValuA_X0_I0+2+0+0:vgprValuA_X0_I0+2+0+0+1], a[148:151]
/*  mfmaIndex:39  */
/* localReadsVacancy: latencyLeft 2 */
_ds_load_u16_d16_hi v[vgprValuA_X2_I0_D1+3], v[vgprLocalReadAddrA] offset:17922 // L -> Reg lro=8192 swapByteOffset=0 ti=256 vIdx=0 rIdx=3 oIdx=0 buffer=2 iui=0
	;; [unrolled: 8-line block ×6, first 2 shown]
v_mfma_f32_16x16x16_bf16 a[176+0:179+0], v[vgprValuB_X0_I0+22+0+0:vgprValuB_X0_I0+22+0+0+1], v[vgprValuA_X0_I0+0+0+0:vgprValuA_X0_I0+0+0+0+1], a[176:179]
/*  mfmaIndex:48  */
/* localReadsVacancy: latencyLeft 2 */
_ds_load_b64 v[vgprValuB_X2_I0+2:vgprValuB_X2_I0+2+1], v[vgprLocalReadAddrB] offset:2240 // L -> Reg lro=32 swapByteOffset=0 ti=16 vIdx=1 rIdx=0 oIdx=0 buffer=2 iui=0
v_mfma_f32_16x16x16_bf16 a[192+0:195+0], v[vgprValuB_X0_I0+24+0+0:vgprValuB_X0_I0+24+0+0+1], v[vgprValuA_X0_I0+0+0+0:vgprValuA_X0_I0+0+0+0+1], a[192:195]
/*  mfmaIndex:49  */
/* localReadsVacancy: latencyLeft 2 */
_ds_load_b64 v[vgprValuB_X2_I0+4:vgprValuB_X2_I0+4+1], v[vgprLocalReadAddrB] offset:4416 // L -> Reg lro=32 swapByteOffset=0 ti=16 vIdx=2 rIdx=0 oIdx=0 buffer=2 iui=0
v_mfma_f32_16x16x16_bf16 a[196+0:199+0], v[vgprValuB_X0_I0+24+0+0:vgprValuB_X0_I0+24+0+0+1], v[vgprValuA_X0_I0+2+0+0:vgprValuA_X0_I0+2+0+0+1], a[196:199]
/*  mfmaIndex:50  */
/* localReadsVacancy: latencyLeft 2 */
_ds_load_b64 v[vgprValuB_X2_I0+6:vgprValuB_X2_I0+6+1], v[vgprLocalReadAddrB] offset:6592 // L -> Reg lro=32 swapByteOffset=0 ti=16 vIdx=3 rIdx=0 oIdx=0 buffer=2 iui=0
v_mfma_f32_16x16x16_bf16 a[200+0:203+0], v[vgprValuB_X0_I0+24+0+0:vgprValuB_X0_I0+24+0+0+1], v[vgprValuA_X0_I0+4+0+0:vgprValuA_X0_I0+4+0+0+1], a[200:203]
/*  mfmaIndex:51  */
/* localReadsVacancy: latencyLeft 2 */
_ds_load_b64 v[vgprValuB_X2_I0+8:vgprValuB_X2_I0+8+1], v[vgprLocalReadAddrB] offset:8768 // L -> Reg lro=32 swapByteOffset=0 ti=16 vIdx=4 rIdx=0 oIdx=0 buffer=2 iui=0
v_mfma_f32_16x16x16_bf16 a[204+0:207+0], v[vgprValuB_X0_I0+24+0+0:vgprValuB_X0_I0+24+0+0+1], v[vgprValuA_X0_I0+6+0+0:vgprValuA_X0_I0+6+0+0+1], a[204:207]
/*  mfmaIndex:52  */
/* localReadsVacancy: latencyLeft 2 */
_ds_load_b64 v[vgprValuB_X2_I0+10:vgprValuB_X2_I0+10+1], v[vgprLocalReadAddrB] offset:10944 // L -> Reg lro=32 swapByteOffset=0 ti=16 vIdx=5 rIdx=0 oIdx=0 buffer=2 iui=0
v_mfma_f32_16x16x16_bf16 a[220+0:223+0], v[vgprValuB_X0_I0+26+0+0:vgprValuB_X0_I0+26+0+0+1], v[vgprValuA_X0_I0+6+0+0:vgprValuA_X0_I0+6+0+0+1], a[220:223]
/*  mfmaIndex:53  */
/* localReadsVacancy: latencyLeft 2 */
_ds_load_b64 v[vgprValuB_X2_I0+12:vgprValuB_X2_I0+12+1], v[vgprLocalReadAddrB] offset:13120 // L -> Reg lro=32 swapByteOffset=0 ti=16 vIdx=6 rIdx=0 oIdx=0 buffer=2 iui=0
v_mfma_f32_16x16x16_bf16 a[216+0:219+0], v[vgprValuB_X0_I0+26+0+0:vgprValuB_X0_I0+26+0+0+1], v[vgprValuA_X0_I0+4+0+0:vgprValuA_X0_I0+4+0+0+1], a[216:219]
/*  mfmaIndex:54  */
/* localReadsVacancy: latencyLeft 2 */
_ds_load_b64 v[vgprValuB_X2_I0+14:vgprValuB_X2_I0+14+1], v[vgprLocalReadAddrB] offset:15296 // L -> Reg lro=32 swapByteOffset=0 ti=16 vIdx=7 rIdx=0 oIdx=0 buffer=2 iui=0
v_mfma_f32_16x16x16_bf16 a[212+0:215+0], v[vgprValuB_X0_I0+26+0+0:vgprValuB_X0_I0+26+0+0+1], v[vgprValuA_X0_I0+2+0+0:vgprValuA_X0_I0+2+0+0+1], a[212:215]
/*  mfmaIndex:55  */
/* localReadsVacancy: latencyLeft 2 */
_ds_load_b64 v[vgprValuB_X2_I0+16:vgprValuB_X2_I0+16+1], v[vgprLocalReadAddrB] offset:17472 // L -> Reg lro=32 swapByteOffset=0 ti=16 vIdx=8 rIdx=0 oIdx=0 buffer=2 iui=0
v_mfma_f32_16x16x16_bf16 a[208+0:211+0], v[vgprValuB_X0_I0+26+0+0:vgprValuB_X0_I0+26+0+0+1], v[vgprValuA_X0_I0+0+0+0:vgprValuA_X0_I0+0+0+0+1], a[208:211]
/* numPrefetchIter=0 */
/* dataAtIterA=-1 numReadsIterA=1 skipReadsIterA=1 readsPerIterA=16 */
/* dataAtIterB=-1 numReadsIterB=1 skipReadsIterB=1 readsPerIterB=14 */


/* iter 1 (last unrolled loop) */

/*  grEndMfmaIndex:0, lwStartMfmaIndex:183, lwEndMfmaIndex:183  */
/*  numMfmaForLR:35, barrierMfmaIndex:188, LocalWritePerMfma:0.250 */
/*  mfmaIndex:56  */
_ds_load_b64 v[vgprValuB_X2_I0+18:vgprValuB_X2_I0+18+1], v[vgprLocalReadAddrB] offset:19648 // L -> Reg lro=32 swapByteOffset=0 ti=16 vIdx=9 rIdx=0 oIdx=0 buffer=2 iui=0
s_waitcnt lgkmcnt(15)                              // lgkmcnt=0 vmcnt=-1wait for prior local read local write old=25, new=26 newLW=0 newLR=1
/* pack scheduling: packAIdx:2, packBIdx:0 */
v_or_b32 v[vgprValuA_X1_I0+0], v[vgprValuA_X1_I0+0], v[vgprValuA_X1_I0_D1+0] // pack two half Vgpr to one Vgpr
v_or_b32 v[vgprValuA_X1_I0+1], v[vgprValuA_X1_I0+1], v[vgprValuA_X1_I0_D1+1] // pack two half Vgpr to one Vgpr
	;; [unrolled: 1-line block ×4, first 2 shown]
v_mfma_f32_16x16x16_bf16 a[0+0:3+0], v[vgprValuB_X1_I0+0+0+0:vgprValuB_X1_I0+0+0+0+1], v[vgprValuA_X1_I0+0+0+0:vgprValuA_X1_I0+0+0+0+1], a[0:3]
/*  mfmaIndex:57  */
_ds_load_b64 v[vgprValuB_X2_I0+20:vgprValuB_X2_I0+20+1], v[vgprLocalReadAddrB] offset:21824 // L -> Reg lro=32 swapByteOffset=0 ti=16 vIdx=10 rIdx=0 oIdx=0 buffer=2 iui=0
/* pack scheduling: packAIdx:4, packBIdx:0 */
v_or_b32 v[vgprValuA_X1_I0+4], v[vgprValuA_X1_I0+4], v[vgprValuA_X1_I0_D1+4] // pack two half Vgpr to one Vgpr
v_or_b32 v[vgprValuA_X1_I0+5], v[vgprValuA_X1_I0+5], v[vgprValuA_X1_I0_D1+5] // pack two half Vgpr to one Vgpr
v_mfma_f32_16x16x16_bf16 a[4+0:7+0], v[vgprValuB_X1_I0+0+0+0:vgprValuB_X1_I0+0+0+0+1], v[vgprValuA_X1_I0+2+0+0:vgprValuA_X1_I0+2+0+0+1], a[4:7]
/*  mfmaIndex:58  */
_ds_load_b64 v[vgprValuB_X2_I0+22:vgprValuB_X2_I0+22+1], v[vgprLocalReadAddrB] offset:24000 // L -> Reg lro=32 swapByteOffset=0 ti=16 vIdx=11 rIdx=0 oIdx=0 buffer=2 iui=0
/* pack scheduling: packAIdx:6, packBIdx:0 */
v_or_b32 v[vgprValuA_X1_I0+6], v[vgprValuA_X1_I0+6], v[vgprValuA_X1_I0_D1+6] // pack two half Vgpr to one Vgpr
v_or_b32 v[vgprValuA_X1_I0+7], v[vgprValuA_X1_I0+7], v[vgprValuA_X1_I0_D1+7] // pack two half Vgpr to one Vgpr
v_mfma_f32_16x16x16_bf16 a[8+0:11+0], v[vgprValuB_X1_I0+0+0+0:vgprValuB_X1_I0+0+0+0+1], v[vgprValuA_X1_I0+4+0+0:vgprValuA_X1_I0+4+0+0+1], a[8:11]
/*  mfmaIndex:59  */
_ds_load_b64 v[vgprValuB_X2_I0+24:vgprValuB_X2_I0+24+1], v[vgprLocalReadAddrB] offset:26176 // L -> Reg lro=32 swapByteOffset=0 ti=16 vIdx=12 rIdx=0 oIdx=0 buffer=2 iui=0
v_mfma_f32_16x16x16_bf16 a[12+0:15+0], v[vgprValuB_X1_I0+0+0+0:vgprValuB_X1_I0+0+0+0+1], v[vgprValuA_X1_I0+6+0+0:vgprValuA_X1_I0+6+0+0+1], a[12:15]
/*  mfmaIndex:60  */
_ds_load_b64 v[vgprValuB_X2_I0+26:vgprValuB_X2_I0+26+1], v[vgprLocalReadAddrB] offset:28352 // L -> Reg lro=32 swapByteOffset=0 ti=16 vIdx=13 rIdx=0 oIdx=0 buffer=2 iui=0
v_mfma_f32_16x16x16_bf16 a[28+0:31+0], v[vgprValuB_X1_I0+2+0+0:vgprValuB_X1_I0+2+0+0+1], v[vgprValuA_X1_I0+6+0+0:vgprValuA_X1_I0+6+0+0+1], a[28:31]
/*  mfmaIndex:61  */
/* localReadsVacancy: latencyLeft 2 */
_ds_load_u16 v[vgprValuA_X3_I0+0], v[vgprLocalReadAddrA] offset:24576 // L -> Reg lro=12288 swapByteOffset=0 ti=256 vIdx=0 rIdx=0 oIdx=0 buffer=3 iui=0
v_mfma_f32_16x16x16_bf16 a[24+0:27+0], v[vgprValuB_X1_I0+2+0+0:vgprValuB_X1_I0+2+0+0+1], v[vgprValuA_X1_I0+4+0+0:vgprValuA_X1_I0+4+0+0+1], a[24:27]
/*  mfmaIndex:62  */
/* localReadsVacancy: latencyLeft 2 */
_ds_load_u16_d16_hi v[vgprValuA_X3_I0_D1+0], v[vgprLocalReadAddrA] offset:25088 // L -> Reg lro=12288 swapByteOffset=0 ti=256 vIdx=0 rIdx=1 oIdx=0 buffer=3 iui=0
v_mfma_f32_16x16x16_bf16 a[20+0:23+0], v[vgprValuB_X1_I0+2+0+0:vgprValuB_X1_I0+2+0+0+1], v[vgprValuA_X1_I0+2+0+0:vgprValuA_X1_I0+2+0+0+1], a[20:23]
/*  mfmaIndex:63  */
/* localReadsVacancy: latencyLeft 2 */
_ds_load_u16 v[vgprValuA_X3_I0+1], v[vgprLocalReadAddrA] offset:25600 // L -> Reg lro=12288 swapByteOffset=0 ti=256 vIdx=0 rIdx=2 oIdx=0 buffer=3 iui=0
v_mfma_f32_16x16x16_bf16 a[16+0:19+0], v[vgprValuB_X1_I0+2+0+0:vgprValuB_X1_I0+2+0+0+1], v[vgprValuA_X1_I0+0+0+0:vgprValuA_X1_I0+0+0+0+1], a[16:19]
/*  mfmaIndex:64  */
/* localReadsVacancy: latencyLeft 2 */
_ds_load_u16_d16_hi v[vgprValuA_X3_I0_D1+1], v[vgprLocalReadAddrA] offset:26112 // L -> Reg lro=12288 swapByteOffset=0 ti=256 vIdx=0 rIdx=3 oIdx=0 buffer=3 iui=0
v_mfma_f32_16x16x16_bf16 a[32+0:35+0], v[vgprValuB_X1_I0+4+0+0:vgprValuB_X1_I0+4+0+0+1], v[vgprValuA_X1_I0+0+0+0:vgprValuA_X1_I0+0+0+0+1], a[32:35]
/*  mfmaIndex:65  */
/* localReadsVacancy: latencyLeft 2 */
_ds_load_b64 v[vgprValuB_X3_I0+0:vgprValuB_X3_I0+0+1], v[vgprLocalReadAddrB] offset:96 // L -> Reg lro=48 swapByteOffset=0 ti=16 vIdx=0 rIdx=0 oIdx=0 buffer=3 iui=0
v_mfma_f32_16x16x16_bf16 a[36+0:39+0], v[vgprValuB_X1_I0+4+0+0:vgprValuB_X1_I0+4+0+0+1], v[vgprValuA_X1_I0+2+0+0:vgprValuA_X1_I0+2+0+0+1], a[36:39]
/*  mfmaIndex:66  */
/* localReadsVacancy: latencyLeft 2 */
_ds_load_u16 v[vgprValuA_X3_I0+2], v[vgprLocalReadAddrA] offset:24578 // L -> Reg lro=12288 swapByteOffset=0 ti=256 vIdx=0 rIdx=0 oIdx=0 buffer=3 iui=0
v_mfma_f32_16x16x16_bf16 a[40+0:43+0], v[vgprValuB_X1_I0+4+0+0:vgprValuB_X1_I0+4+0+0+1], v[vgprValuA_X1_I0+4+0+0:vgprValuA_X1_I0+4+0+0+1], a[40:43]
/*  mfmaIndex:67  */
/* localReadsVacancy: latencyLeft 2 */
_ds_load_u16_d16_hi v[vgprValuA_X3_I0_D1+2], v[vgprLocalReadAddrA] offset:25090 // L -> Reg lro=12288 swapByteOffset=0 ti=256 vIdx=0 rIdx=1 oIdx=0 buffer=3 iui=0
v_mfma_f32_16x16x16_bf16 a[44+0:47+0], v[vgprValuB_X1_I0+4+0+0:vgprValuB_X1_I0+4+0+0+1], v[vgprValuA_X1_I0+6+0+0:vgprValuA_X1_I0+6+0+0+1], a[44:47]
/*  mfmaIndex:68  */
/* localReadsVacancy: latencyLeft 2 */
_ds_load_u16 v[vgprValuA_X3_I0+3], v[vgprLocalReadAddrA] offset:25602 // L -> Reg lro=12288 swapByteOffset=0 ti=256 vIdx=0 rIdx=2 oIdx=0 buffer=3 iui=0
v_mfma_f32_16x16x16_bf16 a[60+0:63+0], v[vgprValuB_X1_I0+6+0+0:vgprValuB_X1_I0+6+0+0+1], v[vgprValuA_X1_I0+6+0+0:vgprValuA_X1_I0+6+0+0+1], a[60:63]
/*  mfmaIndex:69  */
/* localReadsVacancy: latencyLeft 2 */
_ds_load_u16_d16_hi v[vgprValuA_X3_I0_D1+3], v[vgprLocalReadAddrA] offset:26114 // L -> Reg lro=12288 swapByteOffset=0 ti=256 vIdx=0 rIdx=3 oIdx=0 buffer=3 iui=0
	;; [unrolled: 8-line block ×6, first 2 shown]
v_mfma_f32_16x16x16_bf16 a[88+0:91+0], v[vgprValuB_X1_I0+10+0+0:vgprValuB_X1_I0+10+0+0+1], v[vgprValuA_X1_I0+4+0+0:vgprValuA_X1_I0+4+0+0+1], a[88:91]
/*  mfmaIndex:78  */
/* localReadsVacancy: latencyLeft 2 */
_ds_load_b64 v[vgprValuB_X3_I0+2:vgprValuB_X3_I0+2+1], v[vgprLocalReadAddrB] offset:2272 // L -> Reg lro=48 swapByteOffset=0 ti=16 vIdx=1 rIdx=0 oIdx=0 buffer=3 iui=0
v_mfma_f32_16x16x16_bf16 a[84+0:87+0], v[vgprValuB_X1_I0+10+0+0:vgprValuB_X1_I0+10+0+0+1], v[vgprValuA_X1_I0+2+0+0:vgprValuA_X1_I0+2+0+0+1], a[84:87]
/*  mfmaIndex:79  */
/* localReadsVacancy: latencyLeft 2 */
_ds_load_b64 v[vgprValuB_X3_I0+4:vgprValuB_X3_I0+4+1], v[vgprLocalReadAddrB] offset:4448 // L -> Reg lro=48 swapByteOffset=0 ti=16 vIdx=2 rIdx=0 oIdx=0 buffer=3 iui=0
	;; [unrolled: 4-line block ×13, first 2 shown]
v_mfma_f32_16x16x16_bf16 a[136+0:139+0], v[vgprValuB_X1_I0+16+0+0:vgprValuB_X1_I0+16+0+0+1], v[vgprValuA_X1_I0+4+0+0:vgprValuA_X1_I0+4+0+0+1], a[136:139]
/*  mfmaIndex:91  */
/* localReadsVacancy: latencyLeft 2 */
v_mfma_f32_16x16x16_bf16 a[140+0:143+0], v[vgprValuB_X1_I0+16+0+0:vgprValuB_X1_I0+16+0+0+1], v[vgprValuA_X1_I0+6+0+0:vgprValuA_X1_I0+6+0+0+1], a[140:143]
/*  mfmaIndex:92  */
/* localReadsVacancy: latencyLeft 2 */
	;; [unrolled: 3-line block ×21, first 2 shown]
v_mfma_f32_16x16x16_bf16 a[208+0:211+0], v[vgprValuB_X1_I0+26+0+0:vgprValuB_X1_I0+26+0+0+1], v[vgprValuA_X1_I0+0+0+0:vgprValuA_X1_I0+0+0+0+1], a[208:211]
/* numPrefetchIter=0 */
/* dataAtIterA=0 numReadsIterA=2 skipReadsIterA=1 readsPerIterA=16 */
/* dataAtIterB=0 numReadsIterB=2 skipReadsIterB=1 readsPerIterB=14 */


/* iter 2 (last unrolled loop) */

/*  grEndMfmaIndex:0, lwStartMfmaIndex:183, lwEndMfmaIndex:183  */
/*  numMfmaForLR:35, barrierMfmaIndex:188, LocalWritePerMfma:0.250 */
/*  mfmaIndex:112  */
/* localReadsVacancy: latencyLeft 2 */
s_waitcnt lgkmcnt(15)                              // lgkmcnt=0 vmcnt=-1wait for prior local read local write old=30, new=30 newLW=0 newLR=0
/* pack scheduling: packAIdx:2, packBIdx:0 */
v_or_b32 v[vgprValuA_X2_I0+0], v[vgprValuA_X2_I0+0], v[vgprValuA_X2_I0_D1+0] // pack two half Vgpr to one Vgpr
v_or_b32 v[vgprValuA_X2_I0+1], v[vgprValuA_X2_I0+1], v[vgprValuA_X2_I0_D1+1] // pack two half Vgpr to one Vgpr
	;; [unrolled: 1-line block ×4, first 2 shown]
v_mfma_f32_16x16x16_bf16 a[0+0:3+0], v[vgprValuB_X2_I0+0+0+0:vgprValuB_X2_I0+0+0+0+1], v[vgprValuA_X2_I0+0+0+0:vgprValuA_X2_I0+0+0+0+1], a[0:3]
/*  mfmaIndex:113  */
/* localReadsVacancy: latencyLeft 2 */
/* pack scheduling: packAIdx:4, packBIdx:0 */
v_or_b32 v[vgprValuA_X2_I0+4], v[vgprValuA_X2_I0+4], v[vgprValuA_X2_I0_D1+4] // pack two half Vgpr to one Vgpr
v_or_b32 v[vgprValuA_X2_I0+5], v[vgprValuA_X2_I0+5], v[vgprValuA_X2_I0_D1+5] // pack two half Vgpr to one Vgpr
v_mfma_f32_16x16x16_bf16 a[4+0:7+0], v[vgprValuB_X2_I0+0+0+0:vgprValuB_X2_I0+0+0+0+1], v[vgprValuA_X2_I0+2+0+0:vgprValuA_X2_I0+2+0+0+1], a[4:7]
/*  mfmaIndex:114  */
/* localReadsVacancy: latencyLeft 2 */
/* pack scheduling: packAIdx:6, packBIdx:0 */
v_or_b32 v[vgprValuA_X2_I0+6], v[vgprValuA_X2_I0+6], v[vgprValuA_X2_I0_D1+6] // pack two half Vgpr to one Vgpr
v_or_b32 v[vgprValuA_X2_I0+7], v[vgprValuA_X2_I0+7], v[vgprValuA_X2_I0_D1+7] // pack two half Vgpr to one Vgpr
v_mfma_f32_16x16x16_bf16 a[8+0:11+0], v[vgprValuB_X2_I0+0+0+0:vgprValuB_X2_I0+0+0+0+1], v[vgprValuA_X2_I0+4+0+0:vgprValuA_X2_I0+4+0+0+1], a[8:11]
/*  mfmaIndex:115  */
/* localReadsVacancy: latencyLeft 2 */
v_mfma_f32_16x16x16_bf16 a[12+0:15+0], v[vgprValuB_X2_I0+0+0+0:vgprValuB_X2_I0+0+0+0+1], v[vgprValuA_X2_I0+6+0+0:vgprValuA_X2_I0+6+0+0+1], a[12:15]
/*  mfmaIndex:116  */
/* localReadsVacancy: latencyLeft 2 */
	;; [unrolled: 3-line block ×53, first 2 shown]
v_mfma_f32_16x16x16_bf16 a[208+0:211+0], v[vgprValuB_X2_I0+26+0+0:vgprValuB_X2_I0+26+0+0+1], v[vgprValuA_X2_I0+0+0+0:vgprValuA_X2_I0+0+0+0+1], a[208:211]
/* numPrefetchIter=0 */
/* dataAtIterA=1 numReadsIterA=3 skipReadsIterA=1 readsPerIterA=16 */
/* dataAtIterB=1 numReadsIterB=3 skipReadsIterB=1 readsPerIterB=14 */


/* iter 3 (last unrolled loop) */

/*  grEndMfmaIndex:0, lwStartMfmaIndex:183, lwEndMfmaIndex:183  */
/*  numMfmaForLR:35, barrierMfmaIndex:188, LocalWritePerMfma:0.250 */
/*  mfmaIndex:168  */
s_waitcnt lgkmcnt(0)                               // lgkmcnt=0 vmcnt=-1wait for prior local read local write old=0, new=0 newLW=0 newLR=0
/* pack scheduling: packAIdx:2, packBIdx:0 */
v_or_b32 v[vgprValuA_X3_I0+0], v[vgprValuA_X3_I0+0], v[vgprValuA_X3_I0_D1+0] // pack two half Vgpr to one Vgpr
v_or_b32 v[vgprValuA_X3_I0+1], v[vgprValuA_X3_I0+1], v[vgprValuA_X3_I0_D1+1] // pack two half Vgpr to one Vgpr
	;; [unrolled: 1-line block ×4, first 2 shown]
v_mfma_f32_16x16x16_bf16 a[0+0:3+0], v[vgprValuB_X3_I0+0+0+0:vgprValuB_X3_I0+0+0+0+1], v[vgprValuA_X3_I0+0+0+0:vgprValuA_X3_I0+0+0+0+1], a[0:3]
/*  mfmaIndex:169  */
/* pack scheduling: packAIdx:4, packBIdx:0 */
v_or_b32 v[vgprValuA_X3_I0+4], v[vgprValuA_X3_I0+4], v[vgprValuA_X3_I0_D1+4] // pack two half Vgpr to one Vgpr
v_or_b32 v[vgprValuA_X3_I0+5], v[vgprValuA_X3_I0+5], v[vgprValuA_X3_I0_D1+5] // pack two half Vgpr to one Vgpr
v_mfma_f32_16x16x16_bf16 a[4+0:7+0], v[vgprValuB_X3_I0+0+0+0:vgprValuB_X3_I0+0+0+0+1], v[vgprValuA_X3_I0+2+0+0:vgprValuA_X3_I0+2+0+0+1], a[4:7]
/*  mfmaIndex:170  */
/* pack scheduling: packAIdx:6, packBIdx:0 */
v_or_b32 v[vgprValuA_X3_I0+6], v[vgprValuA_X3_I0+6], v[vgprValuA_X3_I0_D1+6] // pack two half Vgpr to one Vgpr
v_or_b32 v[vgprValuA_X3_I0+7], v[vgprValuA_X3_I0+7], v[vgprValuA_X3_I0_D1+7] // pack two half Vgpr to one Vgpr
v_mfma_f32_16x16x16_bf16 a[8+0:11+0], v[vgprValuB_X3_I0+0+0+0:vgprValuB_X3_I0+0+0+0+1], v[vgprValuA_X3_I0+4+0+0:vgprValuA_X3_I0+4+0+0+1], a[8:11]
/*  mfmaIndex:171  */
v_mfma_f32_16x16x16_bf16 a[12+0:15+0], v[vgprValuB_X3_I0+0+0+0:vgprValuB_X3_I0+0+0+0+1], v[vgprValuA_X3_I0+6+0+0:vgprValuA_X3_I0+6+0+0+1], a[12:15]
/*  mfmaIndex:172  */
	;; [unrolled: 2-line block ×12, first 2 shown]
/* 1 LDS buffer: read-sync-write */
s_waitcnt lgkmcnt(0)                               // 
s_barrier                                          // 
v_mfma_f32_16x16x16_bf16 a[52+0:55+0], v[vgprValuB_X3_I0+6+0+0:vgprValuB_X3_I0+6+0+0+1], v[vgprValuA_X3_I0+2+0+0:vgprValuA_X3_I0+2+0+0+1], a[52:55]
/*  mfmaIndex:183  */
s_setprio 3                                        // store optimization
v_mfma_f32_16x16x16_bf16 a[48+0:51+0], v[vgprValuB_X3_I0+6+0+0:vgprValuB_X3_I0+6+0+0+1], v[vgprValuA_X3_I0+0+0+0:vgprValuA_X3_I0+0+0+0+1], a[48:51]
/*  mfmaIndex:184  */
v_mfma_f32_16x16x16_bf16 a[64+0:67+0], v[vgprValuB_X3_I0+8+0+0:vgprValuB_X3_I0+8+0+0+1], v[vgprValuA_X3_I0+0+0+0:vgprValuA_X3_I0+0+0+0+1], a[64:67]
/*  mfmaIndex:185  */
	;; [unrolled: 2-line block ×4, first 2 shown]
v_mfma_f32_16x16x16_bf16 a[76+0:79+0], v[vgprValuB_X3_I0+8+0+0:vgprValuB_X3_I0+8+0+0+1], v[vgprValuA_X3_I0+6+0+0:vgprValuA_X3_I0+6+0+0+1], a[76:79]
s_setprio 0                                        // store optimization
/*  mfmaIndex:188  */
v_mfma_f32_16x16x16_bf16 a[92+0:95+0], v[vgprValuB_X3_I0+10+0+0:vgprValuB_X3_I0+10+0+0+1], v[vgprValuA_X3_I0+6+0+0:vgprValuA_X3_I0+6+0+0+1], a[92:95]
/*  mfmaIndex:189  */
s_setprio 3                                        // store optimization
v_mfma_f32_16x16x16_bf16 a[88+0:91+0], v[vgprValuB_X3_I0+10+0+0:vgprValuB_X3_I0+10+0+0+1], v[vgprValuA_X3_I0+4+0+0:vgprValuA_X3_I0+4+0+0+1], a[88:91]
/*  mfmaIndex:190  */
v_mfma_f32_16x16x16_bf16 a[84+0:87+0], v[vgprValuB_X3_I0+10+0+0:vgprValuB_X3_I0+10+0+0+1], v[vgprValuA_X3_I0+2+0+0:vgprValuA_X3_I0+2+0+0+1], a[84:87]
/*  mfmaIndex:191  */
	;; [unrolled: 2-line block ×34, first 2 shown]
v_mfma_f32_16x16x16_bf16 a[208+0:211+0], v[vgprValuB_X3_I0+26+0+0:vgprValuB_X3_I0+26+0+0+1], v[vgprValuA_X3_I0+0+0+0:vgprValuA_X3_I0+0+0+0+1], a[208:211]
/* numPrefetchIter=0 */
/* dataAtIterA=2 numReadsIterA=3 skipReadsIterA=0 readsPerIterA=16 */
/* dataAtIterB=2 numReadsIterB=3 skipReadsIterB=0 readsPerIterB=14 */

PrefetchGlobalLastIterEnd_5:

Summation_End_28:
s_setprio 0                                        // optimization store
/* endSummation: add vgpr [0...240) to pool */
.set ScalarGlobalReadOffsetA, UNDEF
.set ScalarGlobalReadOffsetB, UNDEF

/* Mapping of Acc register -> C Vgpr register */


	;; [unrolled: 1-line block ×3, first 2 shown]
/* not-LocalSplitU: global write indices */

/* computeStoreVgprs */
v_lshrrev_b32 v4, 6, v[vgprSerial]                 // v4 = v[vgprSerial] / 64
v_and_b32 v1, 63, v[vgprSerial]                    // v1 = v[vgprSerial] % 64
v_lshrrev_b32 v1, 4, v1                            // v1 = v1 / 16
v_lshlrev_b32 v1, 0x2, v1                          // thread0 * continuous_output
v_lshrrev_b32 v5, 2, v4                            // v5 = v4 / 4
v_mul_lo_u32 v5, 0x10, v5                          // wave coordination offset 1
_v_add_lshl_u32 v1, v5, v1, 0                      // coordination 1 = vwb *(wave_id1 + tid1)
v_mul_lo_u32 v2, v1, s[sgprStrideC1J]              //  offset 1
v_mul_lo_u32 v3, v1, s[sgprStrideD1J]              //  offset 1
v_and_b32 v5, 3, v4                                // v5 = v4 % 4
v_mul_lo_u32 v5, 0x10, v5                          // wave coordination offset 0
v_and_b32 v0, 15, v[vgprSerial]                    // v0 = v[vgprSerial] % 16
_v_add_lshl_u32 v0, v5, v0, 2                      // coordination 0 = vwa *(wave_id0 + tid0)
s_mul_i32 s53, 256, s[sgprWorkGroup0]              // wgp0 * MT0
_v_add_u32 v0, s53, v0                             // coord 0 = (tid0/MI_m)*4 + waveG0*MIB_m + MT0*SG0
s_mul_i32 s53, 224, s[sgprWorkGroup1]              // wgp1 * MT1
_v_add_u32 v1, s53, v1                             // coord 1 = (tid0%MI_m) + waveG1*MIB_n + MT1*SG1


/* not-LocalSplitU: global write */

s_cmpk_eq_u32 s[sgprBeta], 0x0                     // Beta == 0
s_cbranch_scc0 GW_Beta_43                          // Branch if Beta is not zero

s_and_b32 s54, 255, s[sgprSizeI]                   // s54 = s[sgprSizeI] % 256
s_add_u32 s55, -0x1, s[sgprNumWorkGroups0]         // 
s_cmp_ge_u32 s[sgprWorkGroup0], s55                // wg0 >= nwg0-1 ?
s_cselect_b32 s54, s54, 0                          // set rMT0
s_cmpk_gt_u32 s54, 0x0                             // rMT0 > 0
s_cbranch_scc1 GW_B0_E1_34                         // jump if edges required
s_mov_b32 s57, 0x0                                 // STATIC_DIV: divisior=224
s_mul_i32 s56, 0x249, s[sgprSizeJ]                 // tmp1 = dividend * magic hi
s_lshl_b64 s[56:57], s[56:57], 0x10                // left shift 16 bits
s_mul_i32 s55, s[sgprSizeJ], 0x2493                // tmp0 = dividend * magic lo
s_add_u32 s56, s55, s56                            // add lo
s_addc_u32 s57, s57, 0x0                           // add hi
s_lshr_b64 s[56:57], s[56:57], 0x21                // tmp1 = (dividend * magic) << shift
s_mov_b32 s55, s56                                 // quotient
s_mul_i32 s56, s55, 0xe0                           // quotient*divisor
s_sub_u32 s54, s[sgprSizeJ], s56                   // rReg = dividend - quotient*divisor
s_add_u32 s55, -0x1, s[sgprNumWorkGroups1]         // 
s_cmp_ge_u32 s[sgprWorkGroup1], s55                // wg1 >= nwg1-1
s_cselect_b32 s54, s54, 0                          // set rMT1
s_cmpk_gt_u32 s54, 0x0                             // rMT1 > 0
s_cbranch_scc1 GW_B0_E1_34                         // jump if edges required
GW_B0_E0_31:

/* edge=0, allocate 2 sgpr. perBatchTmpS=2 perBatchMaskS=0 perElementMaskS=0 elementsPerBatch=60 */
/* optSingleColVgpr=1 optSharedColVgpr=0 optSGPRUsage=BufferLoad_Mask optSrdIncForRow=1 */

/******************************************/
/* Global Write Alpha Batch #0 (d1,d0,vc1,vc0) = */
/*    (0,0,0,0:vw4); (0,0,1,0:vw4); (0,0,2,0:vw4); (0,0,3,0:vw4); (1,0,0,0:vw4); (1,0,1,0:vw4); (1,0,2,0:vw4); (1,0,3,0:vw4); (2,0,0,0:vw4); (2,0,1,0:vw4); (2,0,2,0:vw4); (2,0,3,0:vw4); (3,0,0,0:vw4); (3,0,1,0:vw4); (3,0,2,0:vw4); (3,0,3,0:vw4); (4,0,0,0:vw4); (4,0,1,0:vw4); (4,0,2,0:vw4); (4,0,3,0:vw4); (5,0,0,0:vw4); (5,0,1,0:vw4); (5,0,2,0:vw4); (5,0,3,0:vw4); (6,0,0,0:vw4); (6,0,1,0:vw4); (6,0,2,0:vw4); (6,0,3,0:vw4); (7,0,0,0:vw4); (7,0,1,0:vw4); (7,0,2,0:vw4); (7,0,3,0:vw4); (8,0,0,0:vw4); (8,0,1,0:vw4); (8,0,2,0:vw4); (8,0,3,0:vw4); (9,0,0,0:vw4); (9,0,1,0:vw4); (9,0,2,0:vw4); (9,0,3,0:vw4); (10,0,0,0:vw4); (10,0,1,0:vw4); (10,0,2,0:vw4); (10,0,3,0:vw4); (11,0,0,0:vw4); (11,0,1,0:vw4); (11,0,2,0:vw4); (11,0,3,0:vw4); (12,0,0,0:vw4); (12,0,1,0:vw4); (12,0,2,0:vw4); (12,0,3,0:vw4); (13,0,0,0:vw4); (13,0,1,0:vw4); (13,0,2,0:vw4); (13,0,3,0:vw4) */
/******************************************/

/* calc coords, apply mask, and issue loads (if necessary) */
/* (d1,vc1,d0,vc0)=(0,0,0,0) */
/* (d1,vc1,d0,vc0)=(0,1,0,0) */
	;; [unrolled: 1-line block ×56, first 2 shown]
_v_add_lshl_u32 v10, v3, v0, 0x1                   // optSingleColVgpr scaleToBpe: sharedAddrVgpr <- cinRowPtr + coord0, scaled by BPE. BSHERE:coord0=0, coord0Vgpr=0
v_accvgpr_read_b32 v[vgprValuC+12], acc0 // copy acc to vreg[0]
v_accvgpr_read_b32 v[vgprValuC+13], acc4 // copy acc to vreg[1]
v_accvgpr_read_b32 v[vgprValuC+14], acc8 // copy acc to vreg[2]
v_accvgpr_read_b32 v[vgprValuC+15], acc12 // copy acc to vreg[3]
v_accvgpr_read_b32 v[vgprValuC+16], acc1 // copy acc to vreg[4]
v_accvgpr_read_b32 v[vgprValuC+17], acc5 // copy acc to vreg[5]
v_accvgpr_read_b32 v[vgprValuC+18], acc9 // copy acc to vreg[6]
v_accvgpr_read_b32 v[vgprValuC+19], acc13 // copy acc to vreg[7]
v_accvgpr_read_b32 v[vgprValuC+20], acc2 // copy acc to vreg[8]
v_accvgpr_read_b32 v[vgprValuC+21], acc6 // copy acc to vreg[9]
v_accvgpr_read_b32 v[vgprValuC+22], acc10 // copy acc to vreg[10]
v_accvgpr_read_b32 v[vgprValuC+23], acc14 // copy acc to vreg[11]
v_accvgpr_read_b32 v[vgprValuC+24], acc3 // copy acc to vreg[12]
v_accvgpr_read_b32 v[vgprValuC+25], acc7 // copy acc to vreg[13]
v_accvgpr_read_b32 v[vgprValuC+26], acc11 // copy acc to vreg[14]
v_accvgpr_read_b32 v[vgprValuC+27], acc15 // copy acc to vreg[15]
v_accvgpr_read_b32 v[vgprValuC+28], acc16 // copy acc to vreg[16]
v_accvgpr_read_b32 v[vgprValuC+29], acc20 // copy acc to vreg[17]
v_accvgpr_read_b32 v[vgprValuC+30], acc24 // copy acc to vreg[18]
v_accvgpr_read_b32 v[vgprValuC+31], acc28 // copy acc to vreg[19]
v_accvgpr_read_b32 v[vgprValuC+32], acc17 // copy acc to vreg[20]
v_accvgpr_read_b32 v[vgprValuC+33], acc21 // copy acc to vreg[21]
v_accvgpr_read_b32 v[vgprValuC+34], acc25 // copy acc to vreg[22]
v_accvgpr_read_b32 v[vgprValuC+35], acc29 // copy acc to vreg[23]
v_accvgpr_read_b32 v[vgprValuC+36], acc18 // copy acc to vreg[24]
v_accvgpr_read_b32 v[vgprValuC+37], acc22 // copy acc to vreg[25]
v_accvgpr_read_b32 v[vgprValuC+38], acc26 // copy acc to vreg[26]
v_accvgpr_read_b32 v[vgprValuC+39], acc30 // copy acc to vreg[27]
v_accvgpr_read_b32 v[vgprValuC+40], acc19 // copy acc to vreg[28]
v_accvgpr_read_b32 v[vgprValuC+41], acc23 // copy acc to vreg[29]
v_accvgpr_read_b32 v[vgprValuC+42], acc27 // copy acc to vreg[30]
v_accvgpr_read_b32 v[vgprValuC+43], acc31 // copy acc to vreg[31]
v_accvgpr_read_b32 v[vgprValuC+44], acc32 // copy acc to vreg[32]
v_accvgpr_read_b32 v[vgprValuC+45], acc36 // copy acc to vreg[33]
v_accvgpr_read_b32 v[vgprValuC+46], acc40 // copy acc to vreg[34]
v_accvgpr_read_b32 v[vgprValuC+47], acc44 // copy acc to vreg[35]
v_accvgpr_read_b32 v[vgprValuC+48], acc33 // copy acc to vreg[36]
v_accvgpr_read_b32 v[vgprValuC+49], acc37 // copy acc to vreg[37]
v_accvgpr_read_b32 v[vgprValuC+50], acc41 // copy acc to vreg[38]
v_accvgpr_read_b32 v[vgprValuC+51], acc45 // copy acc to vreg[39]
v_accvgpr_read_b32 v[vgprValuC+52], acc34 // copy acc to vreg[40]
v_accvgpr_read_b32 v[vgprValuC+53], acc38 // copy acc to vreg[41]
v_accvgpr_read_b32 v[vgprValuC+54], acc42 // copy acc to vreg[42]
v_accvgpr_read_b32 v[vgprValuC+55], acc46 // copy acc to vreg[43]
v_accvgpr_read_b32 v[vgprValuC+56], acc35 // copy acc to vreg[44]
v_accvgpr_read_b32 v[vgprValuC+57], acc39 // copy acc to vreg[45]
v_accvgpr_read_b32 v[vgprValuC+58], acc43 // copy acc to vreg[46]
v_accvgpr_read_b32 v[vgprValuC+59], acc47 // copy acc to vreg[47]
v_accvgpr_read_b32 v[vgprValuC+60], acc48 // copy acc to vreg[48]
v_accvgpr_read_b32 v[vgprValuC+61], acc52 // copy acc to vreg[49]
v_accvgpr_read_b32 v[vgprValuC+62], acc56 // copy acc to vreg[50]
v_accvgpr_read_b32 v[vgprValuC+63], acc60 // copy acc to vreg[51]
v_accvgpr_read_b32 v[vgprValuC+64], acc49 // copy acc to vreg[52]
v_accvgpr_read_b32 v[vgprValuC+65], acc53 // copy acc to vreg[53]
v_accvgpr_read_b32 v[vgprValuC+66], acc57 // copy acc to vreg[54]
v_accvgpr_read_b32 v[vgprValuC+67], acc61 // copy acc to vreg[55]
v_accvgpr_read_b32 v[vgprValuC+68], acc50 // copy acc to vreg[56]
v_accvgpr_read_b32 v[vgprValuC+69], acc54 // copy acc to vreg[57]
v_accvgpr_read_b32 v[vgprValuC+70], acc58 // copy acc to vreg[58]
v_accvgpr_read_b32 v[vgprValuC+71], acc62 // copy acc to vreg[59]
v_accvgpr_read_b32 v[vgprValuC+72], acc51 // copy acc to vreg[60]
v_accvgpr_read_b32 v[vgprValuC+73], acc55 // copy acc to vreg[61]
v_accvgpr_read_b32 v[vgprValuC+74], acc59 // copy acc to vreg[62]
v_accvgpr_read_b32 v[vgprValuC+75], acc63 // copy acc to vreg[63]
v_accvgpr_read_b32 v[vgprValuC+76], acc64 // copy acc to vreg[64]
v_accvgpr_read_b32 v[vgprValuC+77], acc68 // copy acc to vreg[65]
v_accvgpr_read_b32 v[vgprValuC+78], acc72 // copy acc to vreg[66]
v_accvgpr_read_b32 v[vgprValuC+79], acc76 // copy acc to vreg[67]
v_accvgpr_read_b32 v[vgprValuC+80], acc65 // copy acc to vreg[68]
v_accvgpr_read_b32 v[vgprValuC+81], acc69 // copy acc to vreg[69]
v_accvgpr_read_b32 v[vgprValuC+82], acc73 // copy acc to vreg[70]
v_accvgpr_read_b32 v[vgprValuC+83], acc77 // copy acc to vreg[71]
v_accvgpr_read_b32 v[vgprValuC+84], acc66 // copy acc to vreg[72]
v_accvgpr_read_b32 v[vgprValuC+85], acc70 // copy acc to vreg[73]
v_accvgpr_read_b32 v[vgprValuC+86], acc74 // copy acc to vreg[74]
v_accvgpr_read_b32 v[vgprValuC+87], acc78 // copy acc to vreg[75]
v_accvgpr_read_b32 v[vgprValuC+88], acc67 // copy acc to vreg[76]
v_accvgpr_read_b32 v[vgprValuC+89], acc71 // copy acc to vreg[77]
v_accvgpr_read_b32 v[vgprValuC+90], acc75 // copy acc to vreg[78]
v_accvgpr_read_b32 v[vgprValuC+91], acc79 // copy acc to vreg[79]
v_accvgpr_read_b32 v[vgprValuC+92], acc80 // copy acc to vreg[80]
v_accvgpr_read_b32 v[vgprValuC+93], acc84 // copy acc to vreg[81]
v_accvgpr_read_b32 v[vgprValuC+94], acc88 // copy acc to vreg[82]
v_accvgpr_read_b32 v[vgprValuC+95], acc92 // copy acc to vreg[83]
v_accvgpr_read_b32 v[vgprValuC+96], acc81 // copy acc to vreg[84]
v_accvgpr_read_b32 v[vgprValuC+97], acc85 // copy acc to vreg[85]
v_accvgpr_read_b32 v[vgprValuC+98], acc89 // copy acc to vreg[86]
v_accvgpr_read_b32 v[vgprValuC+99], acc93 // copy acc to vreg[87]
v_accvgpr_read_b32 v[vgprValuC+100], acc82 // copy acc to vreg[88]
v_accvgpr_read_b32 v[vgprValuC+101], acc86 // copy acc to vreg[89]
v_accvgpr_read_b32 v[vgprValuC+102], acc90 // copy acc to vreg[90]
v_accvgpr_read_b32 v[vgprValuC+103], acc94 // copy acc to vreg[91]
v_accvgpr_read_b32 v[vgprValuC+104], acc83 // copy acc to vreg[92]
v_accvgpr_read_b32 v[vgprValuC+105], acc87 // copy acc to vreg[93]
v_accvgpr_read_b32 v[vgprValuC+106], acc91 // copy acc to vreg[94]
v_accvgpr_read_b32 v[vgprValuC+107], acc95 // copy acc to vreg[95]
v_accvgpr_read_b32 v[vgprValuC+108], acc96 // copy acc to vreg[96]
v_accvgpr_read_b32 v[vgprValuC+109], acc100 // copy acc to vreg[97]
v_accvgpr_read_b32 v[vgprValuC+110], acc104 // copy acc to vreg[98]
v_accvgpr_read_b32 v[vgprValuC+111], acc108 // copy acc to vreg[99]
v_accvgpr_read_b32 v[vgprValuC+112], acc97 // copy acc to vreg[100]
v_accvgpr_read_b32 v[vgprValuC+113], acc101 // copy acc to vreg[101]
v_accvgpr_read_b32 v[vgprValuC+114], acc105 // copy acc to vreg[102]
v_accvgpr_read_b32 v[vgprValuC+115], acc109 // copy acc to vreg[103]
v_accvgpr_read_b32 v[vgprValuC+116], acc98 // copy acc to vreg[104]
v_accvgpr_read_b32 v[vgprValuC+117], acc102 // copy acc to vreg[105]
v_accvgpr_read_b32 v[vgprValuC+118], acc106 // copy acc to vreg[106]
v_accvgpr_read_b32 v[vgprValuC+119], acc110 // copy acc to vreg[107]
v_accvgpr_read_b32 v[vgprValuC+120], acc99 // copy acc to vreg[108]
v_accvgpr_read_b32 v[vgprValuC+121], acc103 // copy acc to vreg[109]
v_accvgpr_read_b32 v[vgprValuC+122], acc107 // copy acc to vreg[110]
v_accvgpr_read_b32 v[vgprValuC+123], acc111 // copy acc to vreg[111]
v_accvgpr_read_b32 v[vgprValuC+124], acc112 // copy acc to vreg[112]
v_accvgpr_read_b32 v[vgprValuC+125], acc116 // copy acc to vreg[113]
v_accvgpr_read_b32 v[vgprValuC+126], acc120 // copy acc to vreg[114]
v_accvgpr_read_b32 v[vgprValuC+127], acc124 // copy acc to vreg[115]
v_accvgpr_read_b32 v[vgprValuC+128], acc113 // copy acc to vreg[116]
v_accvgpr_read_b32 v[vgprValuC+129], acc117 // copy acc to vreg[117]
v_accvgpr_read_b32 v[vgprValuC+130], acc121 // copy acc to vreg[118]
v_accvgpr_read_b32 v[vgprValuC+131], acc125 // copy acc to vreg[119]
v_accvgpr_read_b32 v[vgprValuC+132], acc114 // copy acc to vreg[120]
v_accvgpr_read_b32 v[vgprValuC+133], acc118 // copy acc to vreg[121]
v_accvgpr_read_b32 v[vgprValuC+134], acc122 // copy acc to vreg[122]
v_accvgpr_read_b32 v[vgprValuC+135], acc126 // copy acc to vreg[123]
v_accvgpr_read_b32 v[vgprValuC+136], acc115 // copy acc to vreg[124]
v_accvgpr_read_b32 v[vgprValuC+137], acc119 // copy acc to vreg[125]
v_accvgpr_read_b32 v[vgprValuC+138], acc123 // copy acc to vreg[126]
v_accvgpr_read_b32 v[vgprValuC+139], acc127 // copy acc to vreg[127]
v_accvgpr_read_b32 v[vgprValuC+140], acc128 // copy acc to vreg[128]
v_accvgpr_read_b32 v[vgprValuC+141], acc132 // copy acc to vreg[129]
v_accvgpr_read_b32 v[vgprValuC+142], acc136 // copy acc to vreg[130]
v_accvgpr_read_b32 v[vgprValuC+143], acc140 // copy acc to vreg[131]
v_accvgpr_read_b32 v[vgprValuC+144], acc129 // copy acc to vreg[132]
v_accvgpr_read_b32 v[vgprValuC+145], acc133 // copy acc to vreg[133]
v_accvgpr_read_b32 v[vgprValuC+146], acc137 // copy acc to vreg[134]
v_accvgpr_read_b32 v[vgprValuC+147], acc141 // copy acc to vreg[135]
v_accvgpr_read_b32 v[vgprValuC+148], acc130 // copy acc to vreg[136]
v_accvgpr_read_b32 v[vgprValuC+149], acc134 // copy acc to vreg[137]
v_accvgpr_read_b32 v[vgprValuC+150], acc138 // copy acc to vreg[138]
v_accvgpr_read_b32 v[vgprValuC+151], acc142 // copy acc to vreg[139]
v_accvgpr_read_b32 v[vgprValuC+152], acc131 // copy acc to vreg[140]
v_accvgpr_read_b32 v[vgprValuC+153], acc135 // copy acc to vreg[141]
v_accvgpr_read_b32 v[vgprValuC+154], acc139 // copy acc to vreg[142]
v_accvgpr_read_b32 v[vgprValuC+155], acc143 // copy acc to vreg[143]
v_accvgpr_read_b32 v[vgprValuC+156], acc144 // copy acc to vreg[144]
v_accvgpr_read_b32 v[vgprValuC+157], acc148 // copy acc to vreg[145]
v_accvgpr_read_b32 v[vgprValuC+158], acc152 // copy acc to vreg[146]
v_accvgpr_read_b32 v[vgprValuC+159], acc156 // copy acc to vreg[147]
v_accvgpr_read_b32 v[vgprValuC+160], acc145 // copy acc to vreg[148]
v_accvgpr_read_b32 v[vgprValuC+161], acc149 // copy acc to vreg[149]
v_accvgpr_read_b32 v[vgprValuC+162], acc153 // copy acc to vreg[150]
v_accvgpr_read_b32 v[vgprValuC+163], acc157 // copy acc to vreg[151]
v_accvgpr_read_b32 v[vgprValuC+164], acc146 // copy acc to vreg[152]
v_accvgpr_read_b32 v[vgprValuC+165], acc150 // copy acc to vreg[153]
v_accvgpr_read_b32 v[vgprValuC+166], acc154 // copy acc to vreg[154]
v_accvgpr_read_b32 v[vgprValuC+167], acc158 // copy acc to vreg[155]
v_accvgpr_read_b32 v[vgprValuC+168], acc147 // copy acc to vreg[156]
v_accvgpr_read_b32 v[vgprValuC+169], acc151 // copy acc to vreg[157]
v_accvgpr_read_b32 v[vgprValuC+170], acc155 // copy acc to vreg[158]
v_accvgpr_read_b32 v[vgprValuC+171], acc159 // copy acc to vreg[159]
v_accvgpr_read_b32 v[vgprValuC+172], acc160 // copy acc to vreg[160]
v_accvgpr_read_b32 v[vgprValuC+173], acc164 // copy acc to vreg[161]
v_accvgpr_read_b32 v[vgprValuC+174], acc168 // copy acc to vreg[162]
v_accvgpr_read_b32 v[vgprValuC+175], acc172 // copy acc to vreg[163]
v_accvgpr_read_b32 v[vgprValuC+176], acc161 // copy acc to vreg[164]
v_accvgpr_read_b32 v[vgprValuC+177], acc165 // copy acc to vreg[165]
v_accvgpr_read_b32 v[vgprValuC+178], acc169 // copy acc to vreg[166]
v_accvgpr_read_b32 v[vgprValuC+179], acc173 // copy acc to vreg[167]
v_accvgpr_read_b32 v[vgprValuC+180], acc162 // copy acc to vreg[168]
v_accvgpr_read_b32 v[vgprValuC+181], acc166 // copy acc to vreg[169]
v_accvgpr_read_b32 v[vgprValuC+182], acc170 // copy acc to vreg[170]
v_accvgpr_read_b32 v[vgprValuC+183], acc174 // copy acc to vreg[171]
v_accvgpr_read_b32 v[vgprValuC+184], acc163 // copy acc to vreg[172]
v_accvgpr_read_b32 v[vgprValuC+185], acc167 // copy acc to vreg[173]
v_accvgpr_read_b32 v[vgprValuC+186], acc171 // copy acc to vreg[174]
v_accvgpr_read_b32 v[vgprValuC+187], acc175 // copy acc to vreg[175]
v_accvgpr_read_b32 v[vgprValuC+188], acc176 // copy acc to vreg[176]
v_accvgpr_read_b32 v[vgprValuC+189], acc180 // copy acc to vreg[177]
v_accvgpr_read_b32 v[vgprValuC+190], acc184 // copy acc to vreg[178]
v_accvgpr_read_b32 v[vgprValuC+191], acc188 // copy acc to vreg[179]
v_accvgpr_read_b32 v[vgprValuC+192], acc177 // copy acc to vreg[180]
v_accvgpr_read_b32 v[vgprValuC+193], acc181 // copy acc to vreg[181]
v_accvgpr_read_b32 v[vgprValuC+194], acc185 // copy acc to vreg[182]
v_accvgpr_read_b32 v[vgprValuC+195], acc189 // copy acc to vreg[183]
v_accvgpr_read_b32 v[vgprValuC+196], acc178 // copy acc to vreg[184]
v_accvgpr_read_b32 v[vgprValuC+197], acc182 // copy acc to vreg[185]
v_accvgpr_read_b32 v[vgprValuC+198], acc186 // copy acc to vreg[186]
v_accvgpr_read_b32 v[vgprValuC+199], acc190 // copy acc to vreg[187]
v_accvgpr_read_b32 v[vgprValuC+200], acc179 // copy acc to vreg[188]
v_accvgpr_read_b32 v[vgprValuC+201], acc183 // copy acc to vreg[189]
v_accvgpr_read_b32 v[vgprValuC+202], acc187 // copy acc to vreg[190]
v_accvgpr_read_b32 v[vgprValuC+203], acc191 // copy acc to vreg[191]
v_accvgpr_read_b32 v[vgprValuC+204], acc192 // copy acc to vreg[192]
v_accvgpr_read_b32 v[vgprValuC+205], acc196 // copy acc to vreg[193]
v_accvgpr_read_b32 v[vgprValuC+206], acc200 // copy acc to vreg[194]
v_accvgpr_read_b32 v[vgprValuC+207], acc204 // copy acc to vreg[195]
v_accvgpr_read_b32 v[vgprValuC+208], acc193 // copy acc to vreg[196]
v_accvgpr_read_b32 v[vgprValuC+209], acc197 // copy acc to vreg[197]
v_accvgpr_read_b32 v[vgprValuC+210], acc201 // copy acc to vreg[198]
v_accvgpr_read_b32 v[vgprValuC+211], acc205 // copy acc to vreg[199]
v_accvgpr_read_b32 v[vgprValuC+212], acc194 // copy acc to vreg[200]
v_accvgpr_read_b32 v[vgprValuC+213], acc198 // copy acc to vreg[201]
v_accvgpr_read_b32 v[vgprValuC+214], acc202 // copy acc to vreg[202]
v_accvgpr_read_b32 v[vgprValuC+215], acc206 // copy acc to vreg[203]
v_accvgpr_read_b32 v[vgprValuC+216], acc195 // copy acc to vreg[204]
v_accvgpr_read_b32 v[vgprValuC+217], acc199 // copy acc to vreg[205]
v_accvgpr_read_b32 v[vgprValuC+218], acc203 // copy acc to vreg[206]
v_accvgpr_read_b32 v[vgprValuC+219], acc207 // copy acc to vreg[207]
v_accvgpr_read_b32 v[vgprValuC+220], acc208 // copy acc to vreg[208]
v_accvgpr_read_b32 v[vgprValuC+221], acc212 // copy acc to vreg[209]
v_accvgpr_read_b32 v[vgprValuC+222], acc216 // copy acc to vreg[210]
v_accvgpr_read_b32 v[vgprValuC+223], acc220 // copy acc to vreg[211]
v_accvgpr_read_b32 v[vgprValuC+224], acc209 // copy acc to vreg[212]
v_accvgpr_read_b32 v[vgprValuC+225], acc213 // copy acc to vreg[213]
v_accvgpr_read_b32 v[vgprValuC+226], acc217 // copy acc to vreg[214]
v_accvgpr_read_b32 v[vgprValuC+227], acc221 // copy acc to vreg[215]
v_accvgpr_read_b32 v[vgprValuC+228], acc210 // copy acc to vreg[216]
v_accvgpr_read_b32 v[vgprValuC+229], acc214 // copy acc to vreg[217]
v_accvgpr_read_b32 v[vgprValuC+230], acc218 // copy acc to vreg[218]
v_accvgpr_read_b32 v[vgprValuC+231], acc222 // copy acc to vreg[219]
v_accvgpr_read_b32 v[vgprValuC+232], acc211 // copy acc to vreg[220]
v_accvgpr_read_b32 v[vgprValuC+233], acc215 // copy acc to vreg[221]
v_accvgpr_read_b32 v[vgprValuC+234], acc219 // copy acc to vreg[222]
v_accvgpr_read_b32 v[vgprValuC+235], acc223 // copy acc to vreg[223]
s_nop 1                                            // 2 wait states required before reading vgpr

/* rC *= alpha batchElements=[(0, 0, 0, 0), (0, 0, 1, 0), (0, 0, 2, 0), (0, 0, 3, 0), (1, 0, 0, 0), (1, 0, 1, 0), (1, 0, 2, 0), (1, 0, 3, 0), (2, 0, 0, 0), (2, 0, 1, 0), (2, 0, 2, 0), (2, 0, 3, 0), (3, 0, 0, 0), (3, 0, 1, 0), (3, 0, 2, 0), (3, 0, 3, 0), (4, 0, 0, 0), (4, 0, 1, 0), (4, 0, 2, 0), (4, 0, 3, 0), (5, 0, 0, 0), (5, 0, 1, 0), (5, 0, 2, 0), (5, 0, 3, 0), (6, 0, 0, 0), (6, 0, 1, 0), (6, 0, 2, 0), (6, 0, 3, 0), (7, 0, 0, 0), (7, 0, 1, 0), (7, 0, 2, 0), (7, 0, 3, 0), (8, 0, 0, 0), (8, 0, 1, 0), (8, 0, 2, 0), (8, 0, 3, 0), (9, 0, 0, 0), (9, 0, 1, 0), (9, 0, 2, 0), (9, 0, 3, 0), (10, 0, 0, 0), (10, 0, 1, 0), (10, 0, 2, 0), (10, 0, 3, 0), (11, 0, 0, 0), (11, 0, 1, 0), (11, 0, 2, 0), (11, 0, 3, 0), (12, 0, 0, 0), (12, 0, 1, 0), (12, 0, 2, 0), (12, 0, 3, 0), (13, 0, 0, 0), (13, 0, 1, 0), (13, 0, 2, 0), (13, 0, 3, 0)] */
v_mul_f32 v[vgprValuC+12], s[sgprAlpha], v[vgprValuC+12] // *= alpha
v_mul_f32 v[vgprValuC+13], s[sgprAlpha], v[vgprValuC+13] // *= alpha
	;; [unrolled: 1-line block ×224, first 2 shown]

/* apply mask, calc new C and issue writes */
v_mov_b32 v7, 0xffff0000                           // mask for pack two bfloat16 element to 32bit
v_mov_b32 v8, 0x7fff0000                           // fp32 Nan
v_mov_b32 v9, 0x7fff                               // rounding bias for bfloat16
v_cmp_u_f32 s[54:55], v[vgprValuC+12], v[vgprValuC+12] // check Nan
v_bfe_u32 v6, v[vgprValuC+12], 16, 1               // Non-Nan case: store lsb of bf16
v_add3_u32 v6, v[vgprValuC+12], v6, v9             // Non-Nan case: add lsb and the increment for rounding
v_cndmask_b32 v[vgprValuC+12], v6, v8, s[54:55]    // 
v_lshrrev_b32 v[vgprValuC+12], 16, v[vgprValuC+12] // convert C to bf16
v_cmp_u_f32 s[54:55], v[vgprValuC+13], v[vgprValuC+13] // check Nan
v_bfe_u32 v6, v[vgprValuC+13], 16, 1               // Non-Nan case: store lsb of bf16
v_add3_u32 v6, v[vgprValuC+13], v6, v9             // Non-Nan case: add lsb and the increment for rounding
v_cndmask_b32 v[vgprValuC+13], v6, v8, s[54:55]    // 
v_and_or_b32 v12, v[vgprValuC+13], v7, v[vgprValuC+12] // pack two bf16 to dword
v_cmp_u_f32 s[54:55], v[vgprValuC+14], v[vgprValuC+14] // check Nan
v_bfe_u32 v6, v[vgprValuC+14], 16, 1               // Non-Nan case: store lsb of bf16
v_add3_u32 v6, v[vgprValuC+14], v6, v9             // Non-Nan case: add lsb and the increment for rounding
v_cndmask_b32 v[vgprValuC+14], v6, v8, s[54:55]    // 
v_lshrrev_b32 v[vgprValuC+14], 16, v[vgprValuC+14] // convert C to bf16
v_cmp_u_f32 s[54:55], v[vgprValuC+15], v[vgprValuC+15] // check Nan
v_bfe_u32 v6, v[vgprValuC+15], 16, 1               // Non-Nan case: store lsb of bf16
v_add3_u32 v6, v[vgprValuC+15], v6, v9             // Non-Nan case: add lsb and the increment for rounding
v_cndmask_b32 v[vgprValuC+15], v6, v8, s[54:55]    // 
v_and_or_b32 v13, v[vgprValuC+15], v7, v[vgprValuC+14] // pack two bf16 to dword
_buffer_store_b64 v[12:13], v10, s[sgprSrdD:sgprSrdD+3], 0, offen, offset:0,  sc0 sc1 // store D
v_cmp_u_f32 s[54:55], v[vgprValuC+16], v[vgprValuC+16] // check Nan
v_bfe_u32 v6, v[vgprValuC+16], 16, 1               // Non-Nan case: store lsb of bf16
v_add3_u32 v6, v[vgprValuC+16], v6, v9             // Non-Nan case: add lsb and the increment for rounding
v_cndmask_b32 v[vgprValuC+16], v6, v8, s[54:55]    // 
v_lshrrev_b32 v[vgprValuC+16], 16, v[vgprValuC+16] // convert C to bf16
v_cmp_u_f32 s[54:55], v[vgprValuC+17], v[vgprValuC+17] // check Nan
v_bfe_u32 v6, v[vgprValuC+17], 16, 1               // Non-Nan case: store lsb of bf16
v_add3_u32 v6, v[vgprValuC+17], v6, v9             // Non-Nan case: add lsb and the increment for rounding
v_cndmask_b32 v[vgprValuC+17], v6, v8, s[54:55]    // 
v_and_or_b32 v16, v[vgprValuC+17], v7, v[vgprValuC+16] // pack two bf16 to dword
v_cmp_u_f32 s[54:55], v[vgprValuC+18], v[vgprValuC+18] // check Nan
v_bfe_u32 v6, v[vgprValuC+18], 16, 1               // Non-Nan case: store lsb of bf16
v_add3_u32 v6, v[vgprValuC+18], v6, v9             // Non-Nan case: add lsb and the increment for rounding
v_cndmask_b32 v[vgprValuC+18], v6, v8, s[54:55]    // 
v_lshrrev_b32 v[vgprValuC+18], 16, v[vgprValuC+18] // convert C to bf16
v_cmp_u_f32 s[54:55], v[vgprValuC+19], v[vgprValuC+19] // check Nan
v_bfe_u32 v6, v[vgprValuC+19], 16, 1               // Non-Nan case: store lsb of bf16
v_add3_u32 v6, v[vgprValuC+19], v6, v9             // Non-Nan case: add lsb and the increment for rounding
v_cndmask_b32 v[vgprValuC+19], v6, v8, s[54:55]    // 
v_and_or_b32 v17, v[vgprValuC+19], v7, v[vgprValuC+18] // pack two bf16 to dword
s_lshl_b32  s54, s[sgprStrideD1J], 1               // incToNextRow: Scale by BPE
s_add_u32  s[sgprSrdD+0], s[sgprSrdD+0], s54       // incToNextRow: gra SRD += inc(lower)
s_addc_u32  s[sgprSrdD+1], s[sgprSrdD+1], 0        // incToNextRow: gra SRD += inc(upper)
_buffer_store_b64 v[16:17], v10, s[sgprSrdD:sgprSrdD+3], 0, offen, offset:0,  sc0 sc1 // store D
v_cmp_u_f32 s[54:55], v[vgprValuC+20], v[vgprValuC+20] // check Nan
v_bfe_u32 v6, v[vgprValuC+20], 16, 1               // Non-Nan case: store lsb of bf16
v_add3_u32 v6, v[vgprValuC+20], v6, v9             // Non-Nan case: add lsb and the increment for rounding
v_cndmask_b32 v[vgprValuC+20], v6, v8, s[54:55]    // 
v_lshrrev_b32 v[vgprValuC+20], 16, v[vgprValuC+20] // convert C to bf16
v_cmp_u_f32 s[54:55], v[vgprValuC+21], v[vgprValuC+21] // check Nan
v_bfe_u32 v6, v[vgprValuC+21], 16, 1               // Non-Nan case: store lsb of bf16
v_add3_u32 v6, v[vgprValuC+21], v6, v9             // Non-Nan case: add lsb and the increment for rounding
v_cndmask_b32 v[vgprValuC+21], v6, v8, s[54:55]    // 
v_and_or_b32 v20, v[vgprValuC+21], v7, v[vgprValuC+20] // pack two bf16 to dword
v_cmp_u_f32 s[54:55], v[vgprValuC+22], v[vgprValuC+22] // check Nan
v_bfe_u32 v6, v[vgprValuC+22], 16, 1               // Non-Nan case: store lsb of bf16
v_add3_u32 v6, v[vgprValuC+22], v6, v9             // Non-Nan case: add lsb and the increment for rounding
v_cndmask_b32 v[vgprValuC+22], v6, v8, s[54:55]    // 
v_lshrrev_b32 v[vgprValuC+22], 16, v[vgprValuC+22] // convert C to bf16
v_cmp_u_f32 s[54:55], v[vgprValuC+23], v[vgprValuC+23] // check Nan
v_bfe_u32 v6, v[vgprValuC+23], 16, 1               // Non-Nan case: store lsb of bf16
v_add3_u32 v6, v[vgprValuC+23], v6, v9             // Non-Nan case: add lsb and the increment for rounding
v_cndmask_b32 v[vgprValuC+23], v6, v8, s[54:55]    // 
v_and_or_b32 v21, v[vgprValuC+23], v7, v[vgprValuC+22] // pack two bf16 to dword
s_lshl_b32  s54, s[sgprStrideD1J], 1               // incToNextRow: Scale by BPE
s_add_u32  s[sgprSrdD+0], s[sgprSrdD+0], s54       // incToNextRow: gra SRD += inc(lower)
s_addc_u32  s[sgprSrdD+1], s[sgprSrdD+1], 0        // incToNextRow: gra SRD += inc(upper)
	;; [unrolled: 24-line block ×3, first 2 shown]
_buffer_store_b64 v[24:25], v10, s[sgprSrdD:sgprSrdD+3], 0, offen, offset:0,  sc0 sc1 // store D
v_cmp_u_f32 s[54:55], v[vgprValuC+28], v[vgprValuC+28] // check Nan
v_bfe_u32 v6, v[vgprValuC+28], 16, 1               // Non-Nan case: store lsb of bf16
v_add3_u32 v6, v[vgprValuC+28], v6, v9             // Non-Nan case: add lsb and the increment for rounding
v_cndmask_b32 v[vgprValuC+28], v6, v8, s[54:55]    // 
v_lshrrev_b32 v[vgprValuC+28], 16, v[vgprValuC+28] // convert C to bf16
v_cmp_u_f32 s[54:55], v[vgprValuC+29], v[vgprValuC+29] // check Nan
v_bfe_u32 v6, v[vgprValuC+29], 16, 1               // Non-Nan case: store lsb of bf16
v_add3_u32 v6, v[vgprValuC+29], v6, v9             // Non-Nan case: add lsb and the increment for rounding
v_cndmask_b32 v[vgprValuC+29], v6, v8, s[54:55]    // 
v_and_or_b32 v28, v[vgprValuC+29], v7, v[vgprValuC+28] // pack two bf16 to dword
v_cmp_u_f32 s[54:55], v[vgprValuC+30], v[vgprValuC+30] // check Nan
v_bfe_u32 v6, v[vgprValuC+30], 16, 1               // Non-Nan case: store lsb of bf16
v_add3_u32 v6, v[vgprValuC+30], v6, v9             // Non-Nan case: add lsb and the increment for rounding
v_cndmask_b32 v[vgprValuC+30], v6, v8, s[54:55]    // 
v_lshrrev_b32 v[vgprValuC+30], 16, v[vgprValuC+30] // convert C to bf16
v_cmp_u_f32 s[54:55], v[vgprValuC+31], v[vgprValuC+31] // check Nan
v_bfe_u32 v6, v[vgprValuC+31], 16, 1               // Non-Nan case: store lsb of bf16
v_add3_u32 v6, v[vgprValuC+31], v6, v9             // Non-Nan case: add lsb and the increment for rounding
v_cndmask_b32 v[vgprValuC+31], v6, v8, s[54:55]    // 
v_and_or_b32 v29, v[vgprValuC+31], v7, v[vgprValuC+30] // pack two bf16 to dword
s_mul_i32 s54, s[sgprStrideD1J], 26                // scale StrideD *= numRows(13) * bpe
s_add_u32  s[sgprSrdD+0], s[sgprSrdD+0], s54       // incToNextRow: gra SRD += inc(lower)
s_addc_u32  s[sgprSrdD+1], s[sgprSrdD+1], 0        // incToNextRow: gra SRD += inc(upper)
_buffer_store_b64 v[28:29], v10, s[sgprSrdD:sgprSrdD+3], 0, offen, offset:0,  sc0 sc1 // store D
v_cmp_u_f32 s[54:55], v[vgprValuC+32], v[vgprValuC+32] // check Nan
v_bfe_u32 v6, v[vgprValuC+32], 16, 1               // Non-Nan case: store lsb of bf16
v_add3_u32 v6, v[vgprValuC+32], v6, v9             // Non-Nan case: add lsb and the increment for rounding
v_cndmask_b32 v[vgprValuC+32], v6, v8, s[54:55]    // 
v_lshrrev_b32 v[vgprValuC+32], 16, v[vgprValuC+32] // convert C to bf16
v_cmp_u_f32 s[54:55], v[vgprValuC+33], v[vgprValuC+33] // check Nan
v_bfe_u32 v6, v[vgprValuC+33], 16, 1               // Non-Nan case: store lsb of bf16
v_add3_u32 v6, v[vgprValuC+33], v6, v9             // Non-Nan case: add lsb and the increment for rounding
v_cndmask_b32 v[vgprValuC+33], v6, v8, s[54:55]    // 
v_and_or_b32 v32, v[vgprValuC+33], v7, v[vgprValuC+32] // pack two bf16 to dword
v_cmp_u_f32 s[54:55], v[vgprValuC+34], v[vgprValuC+34] // check Nan
v_bfe_u32 v6, v[vgprValuC+34], 16, 1               // Non-Nan case: store lsb of bf16
v_add3_u32 v6, v[vgprValuC+34], v6, v9             // Non-Nan case: add lsb and the increment for rounding
v_cndmask_b32 v[vgprValuC+34], v6, v8, s[54:55]    // 
v_lshrrev_b32 v[vgprValuC+34], 16, v[vgprValuC+34] // convert C to bf16
v_cmp_u_f32 s[54:55], v[vgprValuC+35], v[vgprValuC+35] // check Nan
v_bfe_u32 v6, v[vgprValuC+35], 16, 1               // Non-Nan case: store lsb of bf16
v_add3_u32 v6, v[vgprValuC+35], v6, v9             // Non-Nan case: add lsb and the increment for rounding
v_cndmask_b32 v[vgprValuC+35], v6, v8, s[54:55]    // 
v_and_or_b32 v33, v[vgprValuC+35], v7, v[vgprValuC+34] // pack two bf16 to dword
s_lshl_b32  s54, s[sgprStrideD1J], 1               // incToNextRow: Scale by BPE
s_add_u32  s[sgprSrdD+0], s[sgprSrdD+0], s54       // incToNextRow: gra SRD += inc(lower)
s_addc_u32  s[sgprSrdD+1], s[sgprSrdD+1], 0        // incToNextRow: gra SRD += inc(upper)
_buffer_store_b64 v[32:33], v10, s[sgprSrdD:sgprSrdD+3], 0, offen, offset:0,  sc0 sc1 // store D
v_cmp_u_f32 s[54:55], v[vgprValuC+36], v[vgprValuC+36] // check Nan
v_bfe_u32 v6, v[vgprValuC+36], 16, 1               // Non-Nan case: store lsb of bf16
v_add3_u32 v6, v[vgprValuC+36], v6, v9             // Non-Nan case: add lsb and the increment for rounding
v_cndmask_b32 v[vgprValuC+36], v6, v8, s[54:55]    // 
v_lshrrev_b32 v[vgprValuC+36], 16, v[vgprValuC+36] // convert C to bf16
v_cmp_u_f32 s[54:55], v[vgprValuC+37], v[vgprValuC+37] // check Nan
v_bfe_u32 v6, v[vgprValuC+37], 16, 1               // Non-Nan case: store lsb of bf16
v_add3_u32 v6, v[vgprValuC+37], v6, v9             // Non-Nan case: add lsb and the increment for rounding
v_cndmask_b32 v[vgprValuC+37], v6, v8, s[54:55]    // 
v_and_or_b32 v36, v[vgprValuC+37], v7, v[vgprValuC+36] // pack two bf16 to dword
v_cmp_u_f32 s[54:55], v[vgprValuC+38], v[vgprValuC+38] // check Nan
v_bfe_u32 v6, v[vgprValuC+38], 16, 1               // Non-Nan case: store lsb of bf16
v_add3_u32 v6, v[vgprValuC+38], v6, v9             // Non-Nan case: add lsb and the increment for rounding
v_cndmask_b32 v[vgprValuC+38], v6, v8, s[54:55]    // 
v_lshrrev_b32 v[vgprValuC+38], 16, v[vgprValuC+38] // convert C to bf16
v_cmp_u_f32 s[54:55], v[vgprValuC+39], v[vgprValuC+39] // check Nan
v_bfe_u32 v6, v[vgprValuC+39], 16, 1               // Non-Nan case: store lsb of bf16
v_add3_u32 v6, v[vgprValuC+39], v6, v9             // Non-Nan case: add lsb and the increment for rounding
v_cndmask_b32 v[vgprValuC+39], v6, v8, s[54:55]    // 
v_and_or_b32 v37, v[vgprValuC+39], v7, v[vgprValuC+38] // pack two bf16 to dword
s_lshl_b32  s54, s[sgprStrideD1J], 1               // incToNextRow: Scale by BPE
	;; [unrolled: 24-line block ×3, first 2 shown]
s_add_u32  s[sgprSrdD+0], s[sgprSrdD+0], s54       // incToNextRow: gra SRD += inc(lower)
s_addc_u32  s[sgprSrdD+1], s[sgprSrdD+1], 0        // incToNextRow: gra SRD += inc(upper)
_buffer_store_b64 v[40:41], v10, s[sgprSrdD:sgprSrdD+3], 0, offen, offset:0,  sc0 sc1 // store D
v_cmp_u_f32 s[54:55], v[vgprValuC+44], v[vgprValuC+44] // check Nan
v_bfe_u32 v6, v[vgprValuC+44], 16, 1               // Non-Nan case: store lsb of bf16
v_add3_u32 v6, v[vgprValuC+44], v6, v9             // Non-Nan case: add lsb and the increment for rounding
v_cndmask_b32 v[vgprValuC+44], v6, v8, s[54:55]    // 
v_lshrrev_b32 v[vgprValuC+44], 16, v[vgprValuC+44] // convert C to bf16
v_cmp_u_f32 s[54:55], v[vgprValuC+45], v[vgprValuC+45] // check Nan
v_bfe_u32 v6, v[vgprValuC+45], 16, 1               // Non-Nan case: store lsb of bf16
v_add3_u32 v6, v[vgprValuC+45], v6, v9             // Non-Nan case: add lsb and the increment for rounding
v_cndmask_b32 v[vgprValuC+45], v6, v8, s[54:55]    // 
v_and_or_b32 v44, v[vgprValuC+45], v7, v[vgprValuC+44] // pack two bf16 to dword
v_cmp_u_f32 s[54:55], v[vgprValuC+46], v[vgprValuC+46] // check Nan
v_bfe_u32 v6, v[vgprValuC+46], 16, 1               // Non-Nan case: store lsb of bf16
v_add3_u32 v6, v[vgprValuC+46], v6, v9             // Non-Nan case: add lsb and the increment for rounding
v_cndmask_b32 v[vgprValuC+46], v6, v8, s[54:55]    // 
v_lshrrev_b32 v[vgprValuC+46], 16, v[vgprValuC+46] // convert C to bf16
v_cmp_u_f32 s[54:55], v[vgprValuC+47], v[vgprValuC+47] // check Nan
v_bfe_u32 v6, v[vgprValuC+47], 16, 1               // Non-Nan case: store lsb of bf16
v_add3_u32 v6, v[vgprValuC+47], v6, v9             // Non-Nan case: add lsb and the increment for rounding
v_cndmask_b32 v[vgprValuC+47], v6, v8, s[54:55]    // 
v_and_or_b32 v45, v[vgprValuC+47], v7, v[vgprValuC+46] // pack two bf16 to dword
s_mul_i32 s54, s[sgprStrideD1J], 26                // scale StrideD *= numRows(13) * bpe
s_add_u32  s[sgprSrdD+0], s[sgprSrdD+0], s54       // incToNextRow: gra SRD += inc(lower)
s_addc_u32  s[sgprSrdD+1], s[sgprSrdD+1], 0        // incToNextRow: gra SRD += inc(upper)
_buffer_store_b64 v[44:45], v10, s[sgprSrdD:sgprSrdD+3], 0, offen, offset:0,  sc0 sc1 // store D
v_cmp_u_f32 s[54:55], v[vgprValuC+48], v[vgprValuC+48] // check Nan
v_bfe_u32 v6, v[vgprValuC+48], 16, 1               // Non-Nan case: store lsb of bf16
v_add3_u32 v6, v[vgprValuC+48], v6, v9             // Non-Nan case: add lsb and the increment for rounding
v_cndmask_b32 v[vgprValuC+48], v6, v8, s[54:55]    // 
v_lshrrev_b32 v[vgprValuC+48], 16, v[vgprValuC+48] // convert C to bf16
v_cmp_u_f32 s[54:55], v[vgprValuC+49], v[vgprValuC+49] // check Nan
v_bfe_u32 v6, v[vgprValuC+49], 16, 1               // Non-Nan case: store lsb of bf16
v_add3_u32 v6, v[vgprValuC+49], v6, v9             // Non-Nan case: add lsb and the increment for rounding
v_cndmask_b32 v[vgprValuC+49], v6, v8, s[54:55]    // 
v_and_or_b32 v48, v[vgprValuC+49], v7, v[vgprValuC+48] // pack two bf16 to dword
v_cmp_u_f32 s[54:55], v[vgprValuC+50], v[vgprValuC+50] // check Nan
v_bfe_u32 v6, v[vgprValuC+50], 16, 1               // Non-Nan case: store lsb of bf16
v_add3_u32 v6, v[vgprValuC+50], v6, v9             // Non-Nan case: add lsb and the increment for rounding
v_cndmask_b32 v[vgprValuC+50], v6, v8, s[54:55]    // 
v_lshrrev_b32 v[vgprValuC+50], 16, v[vgprValuC+50] // convert C to bf16
v_cmp_u_f32 s[54:55], v[vgprValuC+51], v[vgprValuC+51] // check Nan
v_bfe_u32 v6, v[vgprValuC+51], 16, 1               // Non-Nan case: store lsb of bf16
v_add3_u32 v6, v[vgprValuC+51], v6, v9             // Non-Nan case: add lsb and the increment for rounding
v_cndmask_b32 v[vgprValuC+51], v6, v8, s[54:55]    // 
v_and_or_b32 v49, v[vgprValuC+51], v7, v[vgprValuC+50] // pack two bf16 to dword
s_lshl_b32  s54, s[sgprStrideD1J], 1               // incToNextRow: Scale by BPE
s_add_u32  s[sgprSrdD+0], s[sgprSrdD+0], s54       // incToNextRow: gra SRD += inc(lower)
s_addc_u32  s[sgprSrdD+1], s[sgprSrdD+1], 0        // incToNextRow: gra SRD += inc(upper)
_buffer_store_b64 v[48:49], v10, s[sgprSrdD:sgprSrdD+3], 0, offen, offset:0,  sc0 sc1 // store D
v_cmp_u_f32 s[54:55], v[vgprValuC+52], v[vgprValuC+52] // check Nan
v_bfe_u32 v6, v[vgprValuC+52], 16, 1               // Non-Nan case: store lsb of bf16
v_add3_u32 v6, v[vgprValuC+52], v6, v9             // Non-Nan case: add lsb and the increment for rounding
v_cndmask_b32 v[vgprValuC+52], v6, v8, s[54:55]    // 
v_lshrrev_b32 v[vgprValuC+52], 16, v[vgprValuC+52] // convert C to bf16
v_cmp_u_f32 s[54:55], v[vgprValuC+53], v[vgprValuC+53] // check Nan
v_bfe_u32 v6, v[vgprValuC+53], 16, 1               // Non-Nan case: store lsb of bf16
v_add3_u32 v6, v[vgprValuC+53], v6, v9             // Non-Nan case: add lsb and the increment for rounding
v_cndmask_b32 v[vgprValuC+53], v6, v8, s[54:55]    // 
v_and_or_b32 v52, v[vgprValuC+53], v7, v[vgprValuC+52] // pack two bf16 to dword
v_cmp_u_f32 s[54:55], v[vgprValuC+54], v[vgprValuC+54] // check Nan
v_bfe_u32 v6, v[vgprValuC+54], 16, 1               // Non-Nan case: store lsb of bf16
v_add3_u32 v6, v[vgprValuC+54], v6, v9             // Non-Nan case: add lsb and the increment for rounding
v_cndmask_b32 v[vgprValuC+54], v6, v8, s[54:55]    // 
v_lshrrev_b32 v[vgprValuC+54], 16, v[vgprValuC+54] // convert C to bf16
v_cmp_u_f32 s[54:55], v[vgprValuC+55], v[vgprValuC+55] // check Nan
v_bfe_u32 v6, v[vgprValuC+55], 16, 1               // Non-Nan case: store lsb of bf16
v_add3_u32 v6, v[vgprValuC+55], v6, v9             // Non-Nan case: add lsb and the increment for rounding
v_cndmask_b32 v[vgprValuC+55], v6, v8, s[54:55]    // 
v_and_or_b32 v53, v[vgprValuC+55], v7, v[vgprValuC+54] // pack two bf16 to dword
s_lshl_b32  s54, s[sgprStrideD1J], 1               // incToNextRow: Scale by BPE
	;; [unrolled: 24-line block ×3, first 2 shown]
s_add_u32  s[sgprSrdD+0], s[sgprSrdD+0], s54       // incToNextRow: gra SRD += inc(lower)
s_addc_u32  s[sgprSrdD+1], s[sgprSrdD+1], 0        // incToNextRow: gra SRD += inc(upper)
_buffer_store_b64 v[56:57], v10, s[sgprSrdD:sgprSrdD+3], 0, offen, offset:0,  sc0 sc1 // store D
v_cmp_u_f32 s[54:55], v[vgprValuC+60], v[vgprValuC+60] // check Nan
v_bfe_u32 v6, v[vgprValuC+60], 16, 1               // Non-Nan case: store lsb of bf16
v_add3_u32 v6, v[vgprValuC+60], v6, v9             // Non-Nan case: add lsb and the increment for rounding
v_cndmask_b32 v[vgprValuC+60], v6, v8, s[54:55]    // 
v_lshrrev_b32 v[vgprValuC+60], 16, v[vgprValuC+60] // convert C to bf16
v_cmp_u_f32 s[54:55], v[vgprValuC+61], v[vgprValuC+61] // check Nan
v_bfe_u32 v6, v[vgprValuC+61], 16, 1               // Non-Nan case: store lsb of bf16
v_add3_u32 v6, v[vgprValuC+61], v6, v9             // Non-Nan case: add lsb and the increment for rounding
v_cndmask_b32 v[vgprValuC+61], v6, v8, s[54:55]    // 
v_and_or_b32 v60, v[vgprValuC+61], v7, v[vgprValuC+60] // pack two bf16 to dword
v_cmp_u_f32 s[54:55], v[vgprValuC+62], v[vgprValuC+62] // check Nan
v_bfe_u32 v6, v[vgprValuC+62], 16, 1               // Non-Nan case: store lsb of bf16
v_add3_u32 v6, v[vgprValuC+62], v6, v9             // Non-Nan case: add lsb and the increment for rounding
v_cndmask_b32 v[vgprValuC+62], v6, v8, s[54:55]    // 
v_lshrrev_b32 v[vgprValuC+62], 16, v[vgprValuC+62] // convert C to bf16
v_cmp_u_f32 s[54:55], v[vgprValuC+63], v[vgprValuC+63] // check Nan
v_bfe_u32 v6, v[vgprValuC+63], 16, 1               // Non-Nan case: store lsb of bf16
v_add3_u32 v6, v[vgprValuC+63], v6, v9             // Non-Nan case: add lsb and the increment for rounding
v_cndmask_b32 v[vgprValuC+63], v6, v8, s[54:55]    // 
v_and_or_b32 v61, v[vgprValuC+63], v7, v[vgprValuC+62] // pack two bf16 to dword
s_mul_i32 s54, s[sgprStrideD1J], 26                // scale StrideD *= numRows(13) * bpe
s_add_u32  s[sgprSrdD+0], s[sgprSrdD+0], s54       // incToNextRow: gra SRD += inc(lower)
s_addc_u32  s[sgprSrdD+1], s[sgprSrdD+1], 0        // incToNextRow: gra SRD += inc(upper)
_buffer_store_b64 v[60:61], v10, s[sgprSrdD:sgprSrdD+3], 0, offen, offset:0,  sc0 sc1 // store D
v_cmp_u_f32 s[54:55], v[vgprValuC+64], v[vgprValuC+64] // check Nan
v_bfe_u32 v6, v[vgprValuC+64], 16, 1               // Non-Nan case: store lsb of bf16
v_add3_u32 v6, v[vgprValuC+64], v6, v9             // Non-Nan case: add lsb and the increment for rounding
v_cndmask_b32 v[vgprValuC+64], v6, v8, s[54:55]    // 
v_lshrrev_b32 v[vgprValuC+64], 16, v[vgprValuC+64] // convert C to bf16
v_cmp_u_f32 s[54:55], v[vgprValuC+65], v[vgprValuC+65] // check Nan
v_bfe_u32 v6, v[vgprValuC+65], 16, 1               // Non-Nan case: store lsb of bf16
v_add3_u32 v6, v[vgprValuC+65], v6, v9             // Non-Nan case: add lsb and the increment for rounding
v_cndmask_b32 v[vgprValuC+65], v6, v8, s[54:55]    // 
v_and_or_b32 v64, v[vgprValuC+65], v7, v[vgprValuC+64] // pack two bf16 to dword
v_cmp_u_f32 s[54:55], v[vgprValuC+66], v[vgprValuC+66] // check Nan
v_bfe_u32 v6, v[vgprValuC+66], 16, 1               // Non-Nan case: store lsb of bf16
v_add3_u32 v6, v[vgprValuC+66], v6, v9             // Non-Nan case: add lsb and the increment for rounding
v_cndmask_b32 v[vgprValuC+66], v6, v8, s[54:55]    // 
v_lshrrev_b32 v[vgprValuC+66], 16, v[vgprValuC+66] // convert C to bf16
v_cmp_u_f32 s[54:55], v[vgprValuC+67], v[vgprValuC+67] // check Nan
v_bfe_u32 v6, v[vgprValuC+67], 16, 1               // Non-Nan case: store lsb of bf16
v_add3_u32 v6, v[vgprValuC+67], v6, v9             // Non-Nan case: add lsb and the increment for rounding
v_cndmask_b32 v[vgprValuC+67], v6, v8, s[54:55]    // 
v_and_or_b32 v65, v[vgprValuC+67], v7, v[vgprValuC+66] // pack two bf16 to dword
s_lshl_b32  s54, s[sgprStrideD1J], 1               // incToNextRow: Scale by BPE
s_add_u32  s[sgprSrdD+0], s[sgprSrdD+0], s54       // incToNextRow: gra SRD += inc(lower)
s_addc_u32  s[sgprSrdD+1], s[sgprSrdD+1], 0        // incToNextRow: gra SRD += inc(upper)
_buffer_store_b64 v[64:65], v10, s[sgprSrdD:sgprSrdD+3], 0, offen, offset:0,  sc0 sc1 // store D
v_cmp_u_f32 s[54:55], v[vgprValuC+68], v[vgprValuC+68] // check Nan
v_bfe_u32 v6, v[vgprValuC+68], 16, 1               // Non-Nan case: store lsb of bf16
v_add3_u32 v6, v[vgprValuC+68], v6, v9             // Non-Nan case: add lsb and the increment for rounding
v_cndmask_b32 v[vgprValuC+68], v6, v8, s[54:55]    // 
v_lshrrev_b32 v[vgprValuC+68], 16, v[vgprValuC+68] // convert C to bf16
v_cmp_u_f32 s[54:55], v[vgprValuC+69], v[vgprValuC+69] // check Nan
v_bfe_u32 v6, v[vgprValuC+69], 16, 1               // Non-Nan case: store lsb of bf16
v_add3_u32 v6, v[vgprValuC+69], v6, v9             // Non-Nan case: add lsb and the increment for rounding
v_cndmask_b32 v[vgprValuC+69], v6, v8, s[54:55]    // 
v_and_or_b32 v68, v[vgprValuC+69], v7, v[vgprValuC+68] // pack two bf16 to dword
v_cmp_u_f32 s[54:55], v[vgprValuC+70], v[vgprValuC+70] // check Nan
v_bfe_u32 v6, v[vgprValuC+70], 16, 1               // Non-Nan case: store lsb of bf16
v_add3_u32 v6, v[vgprValuC+70], v6, v9             // Non-Nan case: add lsb and the increment for rounding
v_cndmask_b32 v[vgprValuC+70], v6, v8, s[54:55]    // 
v_lshrrev_b32 v[vgprValuC+70], 16, v[vgprValuC+70] // convert C to bf16
v_cmp_u_f32 s[54:55], v[vgprValuC+71], v[vgprValuC+71] // check Nan
v_bfe_u32 v6, v[vgprValuC+71], 16, 1               // Non-Nan case: store lsb of bf16
v_add3_u32 v6, v[vgprValuC+71], v6, v9             // Non-Nan case: add lsb and the increment for rounding
v_cndmask_b32 v[vgprValuC+71], v6, v8, s[54:55]    // 
v_and_or_b32 v69, v[vgprValuC+71], v7, v[vgprValuC+70] // pack two bf16 to dword
s_lshl_b32  s54, s[sgprStrideD1J], 1               // incToNextRow: Scale by BPE
	;; [unrolled: 24-line block ×3, first 2 shown]
s_add_u32  s[sgprSrdD+0], s[sgprSrdD+0], s54       // incToNextRow: gra SRD += inc(lower)
s_addc_u32  s[sgprSrdD+1], s[sgprSrdD+1], 0        // incToNextRow: gra SRD += inc(upper)
_buffer_store_b64 v[72:73], v10, s[sgprSrdD:sgprSrdD+3], 0, offen, offset:0,  sc0 sc1 // store D
v_cmp_u_f32 s[54:55], v[vgprValuC+76], v[vgprValuC+76] // check Nan
v_bfe_u32 v6, v[vgprValuC+76], 16, 1               // Non-Nan case: store lsb of bf16
v_add3_u32 v6, v[vgprValuC+76], v6, v9             // Non-Nan case: add lsb and the increment for rounding
v_cndmask_b32 v[vgprValuC+76], v6, v8, s[54:55]    // 
v_lshrrev_b32 v[vgprValuC+76], 16, v[vgprValuC+76] // convert C to bf16
v_cmp_u_f32 s[54:55], v[vgprValuC+77], v[vgprValuC+77] // check Nan
v_bfe_u32 v6, v[vgprValuC+77], 16, 1               // Non-Nan case: store lsb of bf16
v_add3_u32 v6, v[vgprValuC+77], v6, v9             // Non-Nan case: add lsb and the increment for rounding
v_cndmask_b32 v[vgprValuC+77], v6, v8, s[54:55]    // 
v_and_or_b32 v76, v[vgprValuC+77], v7, v[vgprValuC+76] // pack two bf16 to dword
v_cmp_u_f32 s[54:55], v[vgprValuC+78], v[vgprValuC+78] // check Nan
v_bfe_u32 v6, v[vgprValuC+78], 16, 1               // Non-Nan case: store lsb of bf16
v_add3_u32 v6, v[vgprValuC+78], v6, v9             // Non-Nan case: add lsb and the increment for rounding
v_cndmask_b32 v[vgprValuC+78], v6, v8, s[54:55]    // 
v_lshrrev_b32 v[vgprValuC+78], 16, v[vgprValuC+78] // convert C to bf16
v_cmp_u_f32 s[54:55], v[vgprValuC+79], v[vgprValuC+79] // check Nan
v_bfe_u32 v6, v[vgprValuC+79], 16, 1               // Non-Nan case: store lsb of bf16
v_add3_u32 v6, v[vgprValuC+79], v6, v9             // Non-Nan case: add lsb and the increment for rounding
v_cndmask_b32 v[vgprValuC+79], v6, v8, s[54:55]    // 
v_and_or_b32 v77, v[vgprValuC+79], v7, v[vgprValuC+78] // pack two bf16 to dword
s_mul_i32 s54, s[sgprStrideD1J], 26                // scale StrideD *= numRows(13) * bpe
s_add_u32  s[sgprSrdD+0], s[sgprSrdD+0], s54       // incToNextRow: gra SRD += inc(lower)
s_addc_u32  s[sgprSrdD+1], s[sgprSrdD+1], 0        // incToNextRow: gra SRD += inc(upper)
_buffer_store_b64 v[76:77], v10, s[sgprSrdD:sgprSrdD+3], 0, offen, offset:0,  sc0 sc1 // store D
v_cmp_u_f32 s[54:55], v[vgprValuC+80], v[vgprValuC+80] // check Nan
v_bfe_u32 v6, v[vgprValuC+80], 16, 1               // Non-Nan case: store lsb of bf16
v_add3_u32 v6, v[vgprValuC+80], v6, v9             // Non-Nan case: add lsb and the increment for rounding
v_cndmask_b32 v[vgprValuC+80], v6, v8, s[54:55]    // 
v_lshrrev_b32 v[vgprValuC+80], 16, v[vgprValuC+80] // convert C to bf16
v_cmp_u_f32 s[54:55], v[vgprValuC+81], v[vgprValuC+81] // check Nan
v_bfe_u32 v6, v[vgprValuC+81], 16, 1               // Non-Nan case: store lsb of bf16
v_add3_u32 v6, v[vgprValuC+81], v6, v9             // Non-Nan case: add lsb and the increment for rounding
v_cndmask_b32 v[vgprValuC+81], v6, v8, s[54:55]    // 
v_and_or_b32 v80, v[vgprValuC+81], v7, v[vgprValuC+80] // pack two bf16 to dword
v_cmp_u_f32 s[54:55], v[vgprValuC+82], v[vgprValuC+82] // check Nan
v_bfe_u32 v6, v[vgprValuC+82], 16, 1               // Non-Nan case: store lsb of bf16
v_add3_u32 v6, v[vgprValuC+82], v6, v9             // Non-Nan case: add lsb and the increment for rounding
v_cndmask_b32 v[vgprValuC+82], v6, v8, s[54:55]    // 
v_lshrrev_b32 v[vgprValuC+82], 16, v[vgprValuC+82] // convert C to bf16
v_cmp_u_f32 s[54:55], v[vgprValuC+83], v[vgprValuC+83] // check Nan
v_bfe_u32 v6, v[vgprValuC+83], 16, 1               // Non-Nan case: store lsb of bf16
v_add3_u32 v6, v[vgprValuC+83], v6, v9             // Non-Nan case: add lsb and the increment for rounding
v_cndmask_b32 v[vgprValuC+83], v6, v8, s[54:55]    // 
v_and_or_b32 v81, v[vgprValuC+83], v7, v[vgprValuC+82] // pack two bf16 to dword
s_lshl_b32  s54, s[sgprStrideD1J], 1               // incToNextRow: Scale by BPE
s_add_u32  s[sgprSrdD+0], s[sgprSrdD+0], s54       // incToNextRow: gra SRD += inc(lower)
s_addc_u32  s[sgprSrdD+1], s[sgprSrdD+1], 0        // incToNextRow: gra SRD += inc(upper)
_buffer_store_b64 v[80:81], v10, s[sgprSrdD:sgprSrdD+3], 0, offen, offset:0,  sc0 sc1 // store D
v_cmp_u_f32 s[54:55], v[vgprValuC+84], v[vgprValuC+84] // check Nan
v_bfe_u32 v6, v[vgprValuC+84], 16, 1               // Non-Nan case: store lsb of bf16
v_add3_u32 v6, v[vgprValuC+84], v6, v9             // Non-Nan case: add lsb and the increment for rounding
v_cndmask_b32 v[vgprValuC+84], v6, v8, s[54:55]    // 
v_lshrrev_b32 v[vgprValuC+84], 16, v[vgprValuC+84] // convert C to bf16
v_cmp_u_f32 s[54:55], v[vgprValuC+85], v[vgprValuC+85] // check Nan
v_bfe_u32 v6, v[vgprValuC+85], 16, 1               // Non-Nan case: store lsb of bf16
v_add3_u32 v6, v[vgprValuC+85], v6, v9             // Non-Nan case: add lsb and the increment for rounding
v_cndmask_b32 v[vgprValuC+85], v6, v8, s[54:55]    // 
v_and_or_b32 v84, v[vgprValuC+85], v7, v[vgprValuC+84] // pack two bf16 to dword
v_cmp_u_f32 s[54:55], v[vgprValuC+86], v[vgprValuC+86] // check Nan
v_bfe_u32 v6, v[vgprValuC+86], 16, 1               // Non-Nan case: store lsb of bf16
v_add3_u32 v6, v[vgprValuC+86], v6, v9             // Non-Nan case: add lsb and the increment for rounding
v_cndmask_b32 v[vgprValuC+86], v6, v8, s[54:55]    // 
v_lshrrev_b32 v[vgprValuC+86], 16, v[vgprValuC+86] // convert C to bf16
v_cmp_u_f32 s[54:55], v[vgprValuC+87], v[vgprValuC+87] // check Nan
v_bfe_u32 v6, v[vgprValuC+87], 16, 1               // Non-Nan case: store lsb of bf16
v_add3_u32 v6, v[vgprValuC+87], v6, v9             // Non-Nan case: add lsb and the increment for rounding
v_cndmask_b32 v[vgprValuC+87], v6, v8, s[54:55]    // 
v_and_or_b32 v85, v[vgprValuC+87], v7, v[vgprValuC+86] // pack two bf16 to dword
s_lshl_b32  s54, s[sgprStrideD1J], 1               // incToNextRow: Scale by BPE
	;; [unrolled: 24-line block ×3, first 2 shown]
s_add_u32  s[sgprSrdD+0], s[sgprSrdD+0], s54       // incToNextRow: gra SRD += inc(lower)
s_addc_u32  s[sgprSrdD+1], s[sgprSrdD+1], 0        // incToNextRow: gra SRD += inc(upper)
_buffer_store_b64 v[88:89], v10, s[sgprSrdD:sgprSrdD+3], 0, offen, offset:0,  sc0 sc1 // store D
v_cmp_u_f32 s[54:55], v[vgprValuC+92], v[vgprValuC+92] // check Nan
v_bfe_u32 v6, v[vgprValuC+92], 16, 1               // Non-Nan case: store lsb of bf16
v_add3_u32 v6, v[vgprValuC+92], v6, v9             // Non-Nan case: add lsb and the increment for rounding
v_cndmask_b32 v[vgprValuC+92], v6, v8, s[54:55]    // 
v_lshrrev_b32 v[vgprValuC+92], 16, v[vgprValuC+92] // convert C to bf16
v_cmp_u_f32 s[54:55], v[vgprValuC+93], v[vgprValuC+93] // check Nan
v_bfe_u32 v6, v[vgprValuC+93], 16, 1               // Non-Nan case: store lsb of bf16
v_add3_u32 v6, v[vgprValuC+93], v6, v9             // Non-Nan case: add lsb and the increment for rounding
v_cndmask_b32 v[vgprValuC+93], v6, v8, s[54:55]    // 
v_and_or_b32 v92, v[vgprValuC+93], v7, v[vgprValuC+92] // pack two bf16 to dword
v_cmp_u_f32 s[54:55], v[vgprValuC+94], v[vgprValuC+94] // check Nan
v_bfe_u32 v6, v[vgprValuC+94], 16, 1               // Non-Nan case: store lsb of bf16
v_add3_u32 v6, v[vgprValuC+94], v6, v9             // Non-Nan case: add lsb and the increment for rounding
v_cndmask_b32 v[vgprValuC+94], v6, v8, s[54:55]    // 
v_lshrrev_b32 v[vgprValuC+94], 16, v[vgprValuC+94] // convert C to bf16
v_cmp_u_f32 s[54:55], v[vgprValuC+95], v[vgprValuC+95] // check Nan
v_bfe_u32 v6, v[vgprValuC+95], 16, 1               // Non-Nan case: store lsb of bf16
v_add3_u32 v6, v[vgprValuC+95], v6, v9             // Non-Nan case: add lsb and the increment for rounding
v_cndmask_b32 v[vgprValuC+95], v6, v8, s[54:55]    // 
v_and_or_b32 v93, v[vgprValuC+95], v7, v[vgprValuC+94] // pack two bf16 to dword
s_mul_i32 s54, s[sgprStrideD1J], 26                // scale StrideD *= numRows(13) * bpe
s_add_u32  s[sgprSrdD+0], s[sgprSrdD+0], s54       // incToNextRow: gra SRD += inc(lower)
s_addc_u32  s[sgprSrdD+1], s[sgprSrdD+1], 0        // incToNextRow: gra SRD += inc(upper)
_buffer_store_b64 v[92:93], v10, s[sgprSrdD:sgprSrdD+3], 0, offen, offset:0,  sc0 sc1 // store D
v_cmp_u_f32 s[54:55], v[vgprValuC+96], v[vgprValuC+96] // check Nan
v_bfe_u32 v6, v[vgprValuC+96], 16, 1               // Non-Nan case: store lsb of bf16
v_add3_u32 v6, v[vgprValuC+96], v6, v9             // Non-Nan case: add lsb and the increment for rounding
v_cndmask_b32 v[vgprValuC+96], v6, v8, s[54:55]    // 
v_lshrrev_b32 v[vgprValuC+96], 16, v[vgprValuC+96] // convert C to bf16
v_cmp_u_f32 s[54:55], v[vgprValuC+97], v[vgprValuC+97] // check Nan
v_bfe_u32 v6, v[vgprValuC+97], 16, 1               // Non-Nan case: store lsb of bf16
v_add3_u32 v6, v[vgprValuC+97], v6, v9             // Non-Nan case: add lsb and the increment for rounding
v_cndmask_b32 v[vgprValuC+97], v6, v8, s[54:55]    // 
v_and_or_b32 v96, v[vgprValuC+97], v7, v[vgprValuC+96] // pack two bf16 to dword
v_cmp_u_f32 s[54:55], v[vgprValuC+98], v[vgprValuC+98] // check Nan
v_bfe_u32 v6, v[vgprValuC+98], 16, 1               // Non-Nan case: store lsb of bf16
v_add3_u32 v6, v[vgprValuC+98], v6, v9             // Non-Nan case: add lsb and the increment for rounding
v_cndmask_b32 v[vgprValuC+98], v6, v8, s[54:55]    // 
v_lshrrev_b32 v[vgprValuC+98], 16, v[vgprValuC+98] // convert C to bf16
v_cmp_u_f32 s[54:55], v[vgprValuC+99], v[vgprValuC+99] // check Nan
v_bfe_u32 v6, v[vgprValuC+99], 16, 1               // Non-Nan case: store lsb of bf16
v_add3_u32 v6, v[vgprValuC+99], v6, v9             // Non-Nan case: add lsb and the increment for rounding
v_cndmask_b32 v[vgprValuC+99], v6, v8, s[54:55]    // 
v_and_or_b32 v97, v[vgprValuC+99], v7, v[vgprValuC+98] // pack two bf16 to dword
s_lshl_b32  s54, s[sgprStrideD1J], 1               // incToNextRow: Scale by BPE
s_add_u32  s[sgprSrdD+0], s[sgprSrdD+0], s54       // incToNextRow: gra SRD += inc(lower)
s_addc_u32  s[sgprSrdD+1], s[sgprSrdD+1], 0        // incToNextRow: gra SRD += inc(upper)
_buffer_store_b64 v[96:97], v10, s[sgprSrdD:sgprSrdD+3], 0, offen, offset:0,  sc0 sc1 // store D
v_cmp_u_f32 s[54:55], v[vgprValuC+100], v[vgprValuC+100] // check Nan
v_bfe_u32 v6, v[vgprValuC+100], 16, 1              // Non-Nan case: store lsb of bf16
v_add3_u32 v6, v[vgprValuC+100], v6, v9            // Non-Nan case: add lsb and the increment for rounding
v_cndmask_b32 v[vgprValuC+100], v6, v8, s[54:55]   // 
v_lshrrev_b32 v[vgprValuC+100], 16, v[vgprValuC+100] // convert C to bf16
v_cmp_u_f32 s[54:55], v[vgprValuC+101], v[vgprValuC+101] // check Nan
v_bfe_u32 v6, v[vgprValuC+101], 16, 1              // Non-Nan case: store lsb of bf16
v_add3_u32 v6, v[vgprValuC+101], v6, v9            // Non-Nan case: add lsb and the increment for rounding
v_cndmask_b32 v[vgprValuC+101], v6, v8, s[54:55]   // 
v_and_or_b32 v100, v[vgprValuC+101], v7, v[vgprValuC+100] // pack two bf16 to dword
v_cmp_u_f32 s[54:55], v[vgprValuC+102], v[vgprValuC+102] // check Nan
v_bfe_u32 v6, v[vgprValuC+102], 16, 1              // Non-Nan case: store lsb of bf16
v_add3_u32 v6, v[vgprValuC+102], v6, v9            // Non-Nan case: add lsb and the increment for rounding
v_cndmask_b32 v[vgprValuC+102], v6, v8, s[54:55]   // 
v_lshrrev_b32 v[vgprValuC+102], 16, v[vgprValuC+102] // convert C to bf16
v_cmp_u_f32 s[54:55], v[vgprValuC+103], v[vgprValuC+103] // check Nan
v_bfe_u32 v6, v[vgprValuC+103], 16, 1              // Non-Nan case: store lsb of bf16
v_add3_u32 v6, v[vgprValuC+103], v6, v9            // Non-Nan case: add lsb and the increment for rounding
v_cndmask_b32 v[vgprValuC+103], v6, v8, s[54:55]   // 
v_and_or_b32 v101, v[vgprValuC+103], v7, v[vgprValuC+102] // pack two bf16 to dword
s_lshl_b32  s54, s[sgprStrideD1J], 1               // incToNextRow: Scale by BPE
s_add_u32  s[sgprSrdD+0], s[sgprSrdD+0], s54       // incToNextRow: gra SRD += inc(lower)
s_addc_u32  s[sgprSrdD+1], s[sgprSrdD+1], 0        // incToNextRow: gra SRD += inc(upper)
_buffer_store_b64 v[100:101], v10, s[sgprSrdD:sgprSrdD+3], 0, offen, offset:0,  sc0 sc1 // store D
v_cmp_u_f32 s[54:55], v[vgprValuC+104], v[vgprValuC+104] // check Nan
v_bfe_u32 v6, v[vgprValuC+104], 16, 1              // Non-Nan case: store lsb of bf16
v_add3_u32 v6, v[vgprValuC+104], v6, v9            // Non-Nan case: add lsb and the increment for rounding
v_cndmask_b32 v[vgprValuC+104], v6, v8, s[54:55]   // 
v_lshrrev_b32 v[vgprValuC+104], 16, v[vgprValuC+104] // convert C to bf16
v_cmp_u_f32 s[54:55], v[vgprValuC+105], v[vgprValuC+105] // check Nan
v_bfe_u32 v6, v[vgprValuC+105], 16, 1              // Non-Nan case: store lsb of bf16
v_add3_u32 v6, v[vgprValuC+105], v6, v9            // Non-Nan case: add lsb and the increment for rounding
v_cndmask_b32 v[vgprValuC+105], v6, v8, s[54:55]   // 
v_and_or_b32 v104, v[vgprValuC+105], v7, v[vgprValuC+104] // pack two bf16 to dword
v_cmp_u_f32 s[54:55], v[vgprValuC+106], v[vgprValuC+106] // check Nan
v_bfe_u32 v6, v[vgprValuC+106], 16, 1              // Non-Nan case: store lsb of bf16
v_add3_u32 v6, v[vgprValuC+106], v6, v9            // Non-Nan case: add lsb and the increment for rounding
v_cndmask_b32 v[vgprValuC+106], v6, v8, s[54:55]   // 
v_lshrrev_b32 v[vgprValuC+106], 16, v[vgprValuC+106] // convert C to bf16
v_cmp_u_f32 s[54:55], v[vgprValuC+107], v[vgprValuC+107] // check Nan
v_bfe_u32 v6, v[vgprValuC+107], 16, 1              // Non-Nan case: store lsb of bf16
v_add3_u32 v6, v[vgprValuC+107], v6, v9            // Non-Nan case: add lsb and the increment for rounding
v_cndmask_b32 v[vgprValuC+107], v6, v8, s[54:55]   // 
	;; [unrolled: 24-line block ×3, first 2 shown]
v_and_or_b32 v109, v[vgprValuC+111], v7, v[vgprValuC+110] // pack two bf16 to dword
s_mul_i32 s54, s[sgprStrideD1J], 26                // scale StrideD *= numRows(13) * bpe
s_add_u32  s[sgprSrdD+0], s[sgprSrdD+0], s54       // incToNextRow: gra SRD += inc(lower)
s_addc_u32  s[sgprSrdD+1], s[sgprSrdD+1], 0        // incToNextRow: gra SRD += inc(upper)
_buffer_store_b64 v[108:109], v10, s[sgprSrdD:sgprSrdD+3], 0, offen, offset:0,  sc0 sc1 // store D
v_cmp_u_f32 s[54:55], v[vgprValuC+112], v[vgprValuC+112] // check Nan
v_bfe_u32 v6, v[vgprValuC+112], 16, 1              // Non-Nan case: store lsb of bf16
v_add3_u32 v6, v[vgprValuC+112], v6, v9            // Non-Nan case: add lsb and the increment for rounding
v_cndmask_b32 v[vgprValuC+112], v6, v8, s[54:55]   // 
v_lshrrev_b32 v[vgprValuC+112], 16, v[vgprValuC+112] // convert C to bf16
v_cmp_u_f32 s[54:55], v[vgprValuC+113], v[vgprValuC+113] // check Nan
v_bfe_u32 v6, v[vgprValuC+113], 16, 1              // Non-Nan case: store lsb of bf16
v_add3_u32 v6, v[vgprValuC+113], v6, v9            // Non-Nan case: add lsb and the increment for rounding
v_cndmask_b32 v[vgprValuC+113], v6, v8, s[54:55]   // 
v_and_or_b32 v112, v[vgprValuC+113], v7, v[vgprValuC+112] // pack two bf16 to dword
v_cmp_u_f32 s[54:55], v[vgprValuC+114], v[vgprValuC+114] // check Nan
v_bfe_u32 v6, v[vgprValuC+114], 16, 1              // Non-Nan case: store lsb of bf16
v_add3_u32 v6, v[vgprValuC+114], v6, v9            // Non-Nan case: add lsb and the increment for rounding
v_cndmask_b32 v[vgprValuC+114], v6, v8, s[54:55]   // 
v_lshrrev_b32 v[vgprValuC+114], 16, v[vgprValuC+114] // convert C to bf16
v_cmp_u_f32 s[54:55], v[vgprValuC+115], v[vgprValuC+115] // check Nan
v_bfe_u32 v6, v[vgprValuC+115], 16, 1              // Non-Nan case: store lsb of bf16
v_add3_u32 v6, v[vgprValuC+115], v6, v9            // Non-Nan case: add lsb and the increment for rounding
v_cndmask_b32 v[vgprValuC+115], v6, v8, s[54:55]   // 
v_and_or_b32 v113, v[vgprValuC+115], v7, v[vgprValuC+114] // pack two bf16 to dword
s_lshl_b32  s54, s[sgprStrideD1J], 1               // incToNextRow: Scale by BPE
s_add_u32  s[sgprSrdD+0], s[sgprSrdD+0], s54       // incToNextRow: gra SRD += inc(lower)
s_addc_u32  s[sgprSrdD+1], s[sgprSrdD+1], 0        // incToNextRow: gra SRD += inc(upper)
_buffer_store_b64 v[112:113], v10, s[sgprSrdD:sgprSrdD+3], 0, offen, offset:0,  sc0 sc1 // store D
v_cmp_u_f32 s[54:55], v[vgprValuC+116], v[vgprValuC+116] // check Nan
v_bfe_u32 v6, v[vgprValuC+116], 16, 1              // Non-Nan case: store lsb of bf16
v_add3_u32 v6, v[vgprValuC+116], v6, v9            // Non-Nan case: add lsb and the increment for rounding
v_cndmask_b32 v[vgprValuC+116], v6, v8, s[54:55]   // 
v_lshrrev_b32 v[vgprValuC+116], 16, v[vgprValuC+116] // convert C to bf16
v_cmp_u_f32 s[54:55], v[vgprValuC+117], v[vgprValuC+117] // check Nan
v_bfe_u32 v6, v[vgprValuC+117], 16, 1              // Non-Nan case: store lsb of bf16
v_add3_u32 v6, v[vgprValuC+117], v6, v9            // Non-Nan case: add lsb and the increment for rounding
v_cndmask_b32 v[vgprValuC+117], v6, v8, s[54:55]   // 
v_and_or_b32 v116, v[vgprValuC+117], v7, v[vgprValuC+116] // pack two bf16 to dword
v_cmp_u_f32 s[54:55], v[vgprValuC+118], v[vgprValuC+118] // check Nan
v_bfe_u32 v6, v[vgprValuC+118], 16, 1              // Non-Nan case: store lsb of bf16
v_add3_u32 v6, v[vgprValuC+118], v6, v9            // Non-Nan case: add lsb and the increment for rounding
v_cndmask_b32 v[vgprValuC+118], v6, v8, s[54:55]   // 
v_lshrrev_b32 v[vgprValuC+118], 16, v[vgprValuC+118] // convert C to bf16
v_cmp_u_f32 s[54:55], v[vgprValuC+119], v[vgprValuC+119] // check Nan
v_bfe_u32 v6, v[vgprValuC+119], 16, 1              // Non-Nan case: store lsb of bf16
v_add3_u32 v6, v[vgprValuC+119], v6, v9            // Non-Nan case: add lsb and the increment for rounding
v_cndmask_b32 v[vgprValuC+119], v6, v8, s[54:55]   // 
v_and_or_b32 v117, v[vgprValuC+119], v7, v[vgprValuC+118] // pack two bf16 to dword
s_lshl_b32  s54, s[sgprStrideD1J], 1               // incToNextRow: Scale by BPE
	;; [unrolled: 24-line block ×3, first 2 shown]
s_add_u32  s[sgprSrdD+0], s[sgprSrdD+0], s54       // incToNextRow: gra SRD += inc(lower)
s_addc_u32  s[sgprSrdD+1], s[sgprSrdD+1], 0        // incToNextRow: gra SRD += inc(upper)
_buffer_store_b64 v[120:121], v10, s[sgprSrdD:sgprSrdD+3], 0, offen, offset:0,  sc0 sc1 // store D
v_cmp_u_f32 s[54:55], v[vgprValuC+124], v[vgprValuC+124] // check Nan
v_bfe_u32 v6, v[vgprValuC+124], 16, 1              // Non-Nan case: store lsb of bf16
v_add3_u32 v6, v[vgprValuC+124], v6, v9            // Non-Nan case: add lsb and the increment for rounding
v_cndmask_b32 v[vgprValuC+124], v6, v8, s[54:55]   // 
v_lshrrev_b32 v[vgprValuC+124], 16, v[vgprValuC+124] // convert C to bf16
v_cmp_u_f32 s[54:55], v[vgprValuC+125], v[vgprValuC+125] // check Nan
v_bfe_u32 v6, v[vgprValuC+125], 16, 1              // Non-Nan case: store lsb of bf16
v_add3_u32 v6, v[vgprValuC+125], v6, v9            // Non-Nan case: add lsb and the increment for rounding
v_cndmask_b32 v[vgprValuC+125], v6, v8, s[54:55]   // 
v_and_or_b32 v124, v[vgprValuC+125], v7, v[vgprValuC+124] // pack two bf16 to dword
v_cmp_u_f32 s[54:55], v[vgprValuC+126], v[vgprValuC+126] // check Nan
v_bfe_u32 v6, v[vgprValuC+126], 16, 1              // Non-Nan case: store lsb of bf16
v_add3_u32 v6, v[vgprValuC+126], v6, v9            // Non-Nan case: add lsb and the increment for rounding
v_cndmask_b32 v[vgprValuC+126], v6, v8, s[54:55]   // 
v_lshrrev_b32 v[vgprValuC+126], 16, v[vgprValuC+126] // convert C to bf16
v_cmp_u_f32 s[54:55], v[vgprValuC+127], v[vgprValuC+127] // check Nan
v_bfe_u32 v6, v[vgprValuC+127], 16, 1              // Non-Nan case: store lsb of bf16
v_add3_u32 v6, v[vgprValuC+127], v6, v9            // Non-Nan case: add lsb and the increment for rounding
v_cndmask_b32 v[vgprValuC+127], v6, v8, s[54:55]   // 
v_and_or_b32 v125, v[vgprValuC+127], v7, v[vgprValuC+126] // pack two bf16 to dword
s_mul_i32 s54, s[sgprStrideD1J], 26                // scale StrideD *= numRows(13) * bpe
s_add_u32  s[sgprSrdD+0], s[sgprSrdD+0], s54       // incToNextRow: gra SRD += inc(lower)
s_addc_u32  s[sgprSrdD+1], s[sgprSrdD+1], 0        // incToNextRow: gra SRD += inc(upper)
_buffer_store_b64 v[124:125], v10, s[sgprSrdD:sgprSrdD+3], 0, offen, offset:0,  sc0 sc1 // store D
v_cmp_u_f32 s[54:55], v[vgprValuC+128], v[vgprValuC+128] // check Nan
v_bfe_u32 v6, v[vgprValuC+128], 16, 1              // Non-Nan case: store lsb of bf16
v_add3_u32 v6, v[vgprValuC+128], v6, v9            // Non-Nan case: add lsb and the increment for rounding
v_cndmask_b32 v[vgprValuC+128], v6, v8, s[54:55]   // 
v_lshrrev_b32 v[vgprValuC+128], 16, v[vgprValuC+128] // convert C to bf16
v_cmp_u_f32 s[54:55], v[vgprValuC+129], v[vgprValuC+129] // check Nan
v_bfe_u32 v6, v[vgprValuC+129], 16, 1              // Non-Nan case: store lsb of bf16
v_add3_u32 v6, v[vgprValuC+129], v6, v9            // Non-Nan case: add lsb and the increment for rounding
v_cndmask_b32 v[vgprValuC+129], v6, v8, s[54:55]   // 
v_and_or_b32 v128, v[vgprValuC+129], v7, v[vgprValuC+128] // pack two bf16 to dword
v_cmp_u_f32 s[54:55], v[vgprValuC+130], v[vgprValuC+130] // check Nan
v_bfe_u32 v6, v[vgprValuC+130], 16, 1              // Non-Nan case: store lsb of bf16
v_add3_u32 v6, v[vgprValuC+130], v6, v9            // Non-Nan case: add lsb and the increment for rounding
v_cndmask_b32 v[vgprValuC+130], v6, v8, s[54:55]   // 
v_lshrrev_b32 v[vgprValuC+130], 16, v[vgprValuC+130] // convert C to bf16
v_cmp_u_f32 s[54:55], v[vgprValuC+131], v[vgprValuC+131] // check Nan
v_bfe_u32 v6, v[vgprValuC+131], 16, 1              // Non-Nan case: store lsb of bf16
v_add3_u32 v6, v[vgprValuC+131], v6, v9            // Non-Nan case: add lsb and the increment for rounding
v_cndmask_b32 v[vgprValuC+131], v6, v8, s[54:55]   // 
v_and_or_b32 v129, v[vgprValuC+131], v7, v[vgprValuC+130] // pack two bf16 to dword
s_lshl_b32  s54, s[sgprStrideD1J], 1               // incToNextRow: Scale by BPE
s_add_u32  s[sgprSrdD+0], s[sgprSrdD+0], s54       // incToNextRow: gra SRD += inc(lower)
s_addc_u32  s[sgprSrdD+1], s[sgprSrdD+1], 0        // incToNextRow: gra SRD += inc(upper)
_buffer_store_b64 v[128:129], v10, s[sgprSrdD:sgprSrdD+3], 0, offen, offset:0,  sc0 sc1 // store D
v_cmp_u_f32 s[54:55], v[vgprValuC+132], v[vgprValuC+132] // check Nan
v_bfe_u32 v6, v[vgprValuC+132], 16, 1              // Non-Nan case: store lsb of bf16
v_add3_u32 v6, v[vgprValuC+132], v6, v9            // Non-Nan case: add lsb and the increment for rounding
v_cndmask_b32 v[vgprValuC+132], v6, v8, s[54:55]   // 
v_lshrrev_b32 v[vgprValuC+132], 16, v[vgprValuC+132] // convert C to bf16
v_cmp_u_f32 s[54:55], v[vgprValuC+133], v[vgprValuC+133] // check Nan
v_bfe_u32 v6, v[vgprValuC+133], 16, 1              // Non-Nan case: store lsb of bf16
v_add3_u32 v6, v[vgprValuC+133], v6, v9            // Non-Nan case: add lsb and the increment for rounding
v_cndmask_b32 v[vgprValuC+133], v6, v8, s[54:55]   // 
v_and_or_b32 v132, v[vgprValuC+133], v7, v[vgprValuC+132] // pack two bf16 to dword
v_cmp_u_f32 s[54:55], v[vgprValuC+134], v[vgprValuC+134] // check Nan
v_bfe_u32 v6, v[vgprValuC+134], 16, 1              // Non-Nan case: store lsb of bf16
v_add3_u32 v6, v[vgprValuC+134], v6, v9            // Non-Nan case: add lsb and the increment for rounding
v_cndmask_b32 v[vgprValuC+134], v6, v8, s[54:55]   // 
v_lshrrev_b32 v[vgprValuC+134], 16, v[vgprValuC+134] // convert C to bf16
v_cmp_u_f32 s[54:55], v[vgprValuC+135], v[vgprValuC+135] // check Nan
v_bfe_u32 v6, v[vgprValuC+135], 16, 1              // Non-Nan case: store lsb of bf16
v_add3_u32 v6, v[vgprValuC+135], v6, v9            // Non-Nan case: add lsb and the increment for rounding
v_cndmask_b32 v[vgprValuC+135], v6, v8, s[54:55]   // 
v_and_or_b32 v133, v[vgprValuC+135], v7, v[vgprValuC+134] // pack two bf16 to dword
s_lshl_b32  s54, s[sgprStrideD1J], 1               // incToNextRow: Scale by BPE
	;; [unrolled: 24-line block ×3, first 2 shown]
s_add_u32  s[sgprSrdD+0], s[sgprSrdD+0], s54       // incToNextRow: gra SRD += inc(lower)
s_addc_u32  s[sgprSrdD+1], s[sgprSrdD+1], 0        // incToNextRow: gra SRD += inc(upper)
_buffer_store_b64 v[136:137], v10, s[sgprSrdD:sgprSrdD+3], 0, offen, offset:0,  sc0 sc1 // store D
v_cmp_u_f32 s[54:55], v[vgprValuC+140], v[vgprValuC+140] // check Nan
v_bfe_u32 v6, v[vgprValuC+140], 16, 1              // Non-Nan case: store lsb of bf16
v_add3_u32 v6, v[vgprValuC+140], v6, v9            // Non-Nan case: add lsb and the increment for rounding
v_cndmask_b32 v[vgprValuC+140], v6, v8, s[54:55]   // 
v_lshrrev_b32 v[vgprValuC+140], 16, v[vgprValuC+140] // convert C to bf16
v_cmp_u_f32 s[54:55], v[vgprValuC+141], v[vgprValuC+141] // check Nan
v_bfe_u32 v6, v[vgprValuC+141], 16, 1              // Non-Nan case: store lsb of bf16
v_add3_u32 v6, v[vgprValuC+141], v6, v9            // Non-Nan case: add lsb and the increment for rounding
v_cndmask_b32 v[vgprValuC+141], v6, v8, s[54:55]   // 
v_and_or_b32 v140, v[vgprValuC+141], v7, v[vgprValuC+140] // pack two bf16 to dword
v_cmp_u_f32 s[54:55], v[vgprValuC+142], v[vgprValuC+142] // check Nan
v_bfe_u32 v6, v[vgprValuC+142], 16, 1              // Non-Nan case: store lsb of bf16
v_add3_u32 v6, v[vgprValuC+142], v6, v9            // Non-Nan case: add lsb and the increment for rounding
v_cndmask_b32 v[vgprValuC+142], v6, v8, s[54:55]   // 
v_lshrrev_b32 v[vgprValuC+142], 16, v[vgprValuC+142] // convert C to bf16
v_cmp_u_f32 s[54:55], v[vgprValuC+143], v[vgprValuC+143] // check Nan
v_bfe_u32 v6, v[vgprValuC+143], 16, 1              // Non-Nan case: store lsb of bf16
v_add3_u32 v6, v[vgprValuC+143], v6, v9            // Non-Nan case: add lsb and the increment for rounding
v_cndmask_b32 v[vgprValuC+143], v6, v8, s[54:55]   // 
v_and_or_b32 v141, v[vgprValuC+143], v7, v[vgprValuC+142] // pack two bf16 to dword
s_mul_i32 s54, s[sgprStrideD1J], 26                // scale StrideD *= numRows(13) * bpe
s_add_u32  s[sgprSrdD+0], s[sgprSrdD+0], s54       // incToNextRow: gra SRD += inc(lower)
s_addc_u32  s[sgprSrdD+1], s[sgprSrdD+1], 0        // incToNextRow: gra SRD += inc(upper)
_buffer_store_b64 v[140:141], v10, s[sgprSrdD:sgprSrdD+3], 0, offen, offset:0,  sc0 sc1 // store D
v_cmp_u_f32 s[54:55], v[vgprValuC+144], v[vgprValuC+144] // check Nan
v_bfe_u32 v6, v[vgprValuC+144], 16, 1              // Non-Nan case: store lsb of bf16
v_add3_u32 v6, v[vgprValuC+144], v6, v9            // Non-Nan case: add lsb and the increment for rounding
v_cndmask_b32 v[vgprValuC+144], v6, v8, s[54:55]   // 
v_lshrrev_b32 v[vgprValuC+144], 16, v[vgprValuC+144] // convert C to bf16
v_cmp_u_f32 s[54:55], v[vgprValuC+145], v[vgprValuC+145] // check Nan
v_bfe_u32 v6, v[vgprValuC+145], 16, 1              // Non-Nan case: store lsb of bf16
v_add3_u32 v6, v[vgprValuC+145], v6, v9            // Non-Nan case: add lsb and the increment for rounding
v_cndmask_b32 v[vgprValuC+145], v6, v8, s[54:55]   // 
v_and_or_b32 v144, v[vgprValuC+145], v7, v[vgprValuC+144] // pack two bf16 to dword
v_cmp_u_f32 s[54:55], v[vgprValuC+146], v[vgprValuC+146] // check Nan
v_bfe_u32 v6, v[vgprValuC+146], 16, 1              // Non-Nan case: store lsb of bf16
v_add3_u32 v6, v[vgprValuC+146], v6, v9            // Non-Nan case: add lsb and the increment for rounding
v_cndmask_b32 v[vgprValuC+146], v6, v8, s[54:55]   // 
v_lshrrev_b32 v[vgprValuC+146], 16, v[vgprValuC+146] // convert C to bf16
v_cmp_u_f32 s[54:55], v[vgprValuC+147], v[vgprValuC+147] // check Nan
v_bfe_u32 v6, v[vgprValuC+147], 16, 1              // Non-Nan case: store lsb of bf16
v_add3_u32 v6, v[vgprValuC+147], v6, v9            // Non-Nan case: add lsb and the increment for rounding
v_cndmask_b32 v[vgprValuC+147], v6, v8, s[54:55]   // 
v_and_or_b32 v145, v[vgprValuC+147], v7, v[vgprValuC+146] // pack two bf16 to dword
s_lshl_b32  s54, s[sgprStrideD1J], 1               // incToNextRow: Scale by BPE
s_add_u32  s[sgprSrdD+0], s[sgprSrdD+0], s54       // incToNextRow: gra SRD += inc(lower)
s_addc_u32  s[sgprSrdD+1], s[sgprSrdD+1], 0        // incToNextRow: gra SRD += inc(upper)
_buffer_store_b64 v[144:145], v10, s[sgprSrdD:sgprSrdD+3], 0, offen, offset:0,  sc0 sc1 // store D
v_cmp_u_f32 s[54:55], v[vgprValuC+148], v[vgprValuC+148] // check Nan
v_bfe_u32 v6, v[vgprValuC+148], 16, 1              // Non-Nan case: store lsb of bf16
v_add3_u32 v6, v[vgprValuC+148], v6, v9            // Non-Nan case: add lsb and the increment for rounding
v_cndmask_b32 v[vgprValuC+148], v6, v8, s[54:55]   // 
v_lshrrev_b32 v[vgprValuC+148], 16, v[vgprValuC+148] // convert C to bf16
v_cmp_u_f32 s[54:55], v[vgprValuC+149], v[vgprValuC+149] // check Nan
v_bfe_u32 v6, v[vgprValuC+149], 16, 1              // Non-Nan case: store lsb of bf16
v_add3_u32 v6, v[vgprValuC+149], v6, v9            // Non-Nan case: add lsb and the increment for rounding
v_cndmask_b32 v[vgprValuC+149], v6, v8, s[54:55]   // 
v_and_or_b32 v148, v[vgprValuC+149], v7, v[vgprValuC+148] // pack two bf16 to dword
v_cmp_u_f32 s[54:55], v[vgprValuC+150], v[vgprValuC+150] // check Nan
v_bfe_u32 v6, v[vgprValuC+150], 16, 1              // Non-Nan case: store lsb of bf16
v_add3_u32 v6, v[vgprValuC+150], v6, v9            // Non-Nan case: add lsb and the increment for rounding
v_cndmask_b32 v[vgprValuC+150], v6, v8, s[54:55]   // 
v_lshrrev_b32 v[vgprValuC+150], 16, v[vgprValuC+150] // convert C to bf16
v_cmp_u_f32 s[54:55], v[vgprValuC+151], v[vgprValuC+151] // check Nan
v_bfe_u32 v6, v[vgprValuC+151], 16, 1              // Non-Nan case: store lsb of bf16
v_add3_u32 v6, v[vgprValuC+151], v6, v9            // Non-Nan case: add lsb and the increment for rounding
v_cndmask_b32 v[vgprValuC+151], v6, v8, s[54:55]   // 
v_and_or_b32 v149, v[vgprValuC+151], v7, v[vgprValuC+150] // pack two bf16 to dword
s_lshl_b32  s54, s[sgprStrideD1J], 1               // incToNextRow: Scale by BPE
	;; [unrolled: 24-line block ×3, first 2 shown]
s_add_u32  s[sgprSrdD+0], s[sgprSrdD+0], s54       // incToNextRow: gra SRD += inc(lower)
s_addc_u32  s[sgprSrdD+1], s[sgprSrdD+1], 0        // incToNextRow: gra SRD += inc(upper)
_buffer_store_b64 v[152:153], v10, s[sgprSrdD:sgprSrdD+3], 0, offen, offset:0,  sc0 sc1 // store D
v_cmp_u_f32 s[54:55], v[vgprValuC+156], v[vgprValuC+156] // check Nan
v_bfe_u32 v6, v[vgprValuC+156], 16, 1              // Non-Nan case: store lsb of bf16
v_add3_u32 v6, v[vgprValuC+156], v6, v9            // Non-Nan case: add lsb and the increment for rounding
v_cndmask_b32 v[vgprValuC+156], v6, v8, s[54:55]   // 
v_lshrrev_b32 v[vgprValuC+156], 16, v[vgprValuC+156] // convert C to bf16
v_cmp_u_f32 s[54:55], v[vgprValuC+157], v[vgprValuC+157] // check Nan
v_bfe_u32 v6, v[vgprValuC+157], 16, 1              // Non-Nan case: store lsb of bf16
v_add3_u32 v6, v[vgprValuC+157], v6, v9            // Non-Nan case: add lsb and the increment for rounding
v_cndmask_b32 v[vgprValuC+157], v6, v8, s[54:55]   // 
v_and_or_b32 v156, v[vgprValuC+157], v7, v[vgprValuC+156] // pack two bf16 to dword
v_cmp_u_f32 s[54:55], v[vgprValuC+158], v[vgprValuC+158] // check Nan
v_bfe_u32 v6, v[vgprValuC+158], 16, 1              // Non-Nan case: store lsb of bf16
v_add3_u32 v6, v[vgprValuC+158], v6, v9            // Non-Nan case: add lsb and the increment for rounding
v_cndmask_b32 v[vgprValuC+158], v6, v8, s[54:55]   // 
v_lshrrev_b32 v[vgprValuC+158], 16, v[vgprValuC+158] // convert C to bf16
v_cmp_u_f32 s[54:55], v[vgprValuC+159], v[vgprValuC+159] // check Nan
v_bfe_u32 v6, v[vgprValuC+159], 16, 1              // Non-Nan case: store lsb of bf16
v_add3_u32 v6, v[vgprValuC+159], v6, v9            // Non-Nan case: add lsb and the increment for rounding
v_cndmask_b32 v[vgprValuC+159], v6, v8, s[54:55]   // 
v_and_or_b32 v157, v[vgprValuC+159], v7, v[vgprValuC+158] // pack two bf16 to dword
s_mul_i32 s54, s[sgprStrideD1J], 26                // scale StrideD *= numRows(13) * bpe
s_add_u32  s[sgprSrdD+0], s[sgprSrdD+0], s54       // incToNextRow: gra SRD += inc(lower)
s_addc_u32  s[sgprSrdD+1], s[sgprSrdD+1], 0        // incToNextRow: gra SRD += inc(upper)
_buffer_store_b64 v[156:157], v10, s[sgprSrdD:sgprSrdD+3], 0, offen, offset:0,  sc0 sc1 // store D
v_cmp_u_f32 s[54:55], v[vgprValuC+160], v[vgprValuC+160] // check Nan
v_bfe_u32 v6, v[vgprValuC+160], 16, 1              // Non-Nan case: store lsb of bf16
v_add3_u32 v6, v[vgprValuC+160], v6, v9            // Non-Nan case: add lsb and the increment for rounding
v_cndmask_b32 v[vgprValuC+160], v6, v8, s[54:55]   // 
v_lshrrev_b32 v[vgprValuC+160], 16, v[vgprValuC+160] // convert C to bf16
v_cmp_u_f32 s[54:55], v[vgprValuC+161], v[vgprValuC+161] // check Nan
v_bfe_u32 v6, v[vgprValuC+161], 16, 1              // Non-Nan case: store lsb of bf16
v_add3_u32 v6, v[vgprValuC+161], v6, v9            // Non-Nan case: add lsb and the increment for rounding
v_cndmask_b32 v[vgprValuC+161], v6, v8, s[54:55]   // 
v_and_or_b32 v160, v[vgprValuC+161], v7, v[vgprValuC+160] // pack two bf16 to dword
v_cmp_u_f32 s[54:55], v[vgprValuC+162], v[vgprValuC+162] // check Nan
v_bfe_u32 v6, v[vgprValuC+162], 16, 1              // Non-Nan case: store lsb of bf16
v_add3_u32 v6, v[vgprValuC+162], v6, v9            // Non-Nan case: add lsb and the increment for rounding
v_cndmask_b32 v[vgprValuC+162], v6, v8, s[54:55]   // 
v_lshrrev_b32 v[vgprValuC+162], 16, v[vgprValuC+162] // convert C to bf16
v_cmp_u_f32 s[54:55], v[vgprValuC+163], v[vgprValuC+163] // check Nan
v_bfe_u32 v6, v[vgprValuC+163], 16, 1              // Non-Nan case: store lsb of bf16
v_add3_u32 v6, v[vgprValuC+163], v6, v9            // Non-Nan case: add lsb and the increment for rounding
v_cndmask_b32 v[vgprValuC+163], v6, v8, s[54:55]   // 
v_and_or_b32 v161, v[vgprValuC+163], v7, v[vgprValuC+162] // pack two bf16 to dword
s_lshl_b32  s54, s[sgprStrideD1J], 1               // incToNextRow: Scale by BPE
s_add_u32  s[sgprSrdD+0], s[sgprSrdD+0], s54       // incToNextRow: gra SRD += inc(lower)
s_addc_u32  s[sgprSrdD+1], s[sgprSrdD+1], 0        // incToNextRow: gra SRD += inc(upper)
_buffer_store_b64 v[160:161], v10, s[sgprSrdD:sgprSrdD+3], 0, offen, offset:0,  sc0 sc1 // store D
v_cmp_u_f32 s[54:55], v[vgprValuC+164], v[vgprValuC+164] // check Nan
v_bfe_u32 v6, v[vgprValuC+164], 16, 1              // Non-Nan case: store lsb of bf16
v_add3_u32 v6, v[vgprValuC+164], v6, v9            // Non-Nan case: add lsb and the increment for rounding
v_cndmask_b32 v[vgprValuC+164], v6, v8, s[54:55]   // 
v_lshrrev_b32 v[vgprValuC+164], 16, v[vgprValuC+164] // convert C to bf16
v_cmp_u_f32 s[54:55], v[vgprValuC+165], v[vgprValuC+165] // check Nan
v_bfe_u32 v6, v[vgprValuC+165], 16, 1              // Non-Nan case: store lsb of bf16
v_add3_u32 v6, v[vgprValuC+165], v6, v9            // Non-Nan case: add lsb and the increment for rounding
v_cndmask_b32 v[vgprValuC+165], v6, v8, s[54:55]   // 
v_and_or_b32 v164, v[vgprValuC+165], v7, v[vgprValuC+164] // pack two bf16 to dword
v_cmp_u_f32 s[54:55], v[vgprValuC+166], v[vgprValuC+166] // check Nan
v_bfe_u32 v6, v[vgprValuC+166], 16, 1              // Non-Nan case: store lsb of bf16
v_add3_u32 v6, v[vgprValuC+166], v6, v9            // Non-Nan case: add lsb and the increment for rounding
v_cndmask_b32 v[vgprValuC+166], v6, v8, s[54:55]   // 
v_lshrrev_b32 v[vgprValuC+166], 16, v[vgprValuC+166] // convert C to bf16
v_cmp_u_f32 s[54:55], v[vgprValuC+167], v[vgprValuC+167] // check Nan
v_bfe_u32 v6, v[vgprValuC+167], 16, 1              // Non-Nan case: store lsb of bf16
v_add3_u32 v6, v[vgprValuC+167], v6, v9            // Non-Nan case: add lsb and the increment for rounding
v_cndmask_b32 v[vgprValuC+167], v6, v8, s[54:55]   // 
v_and_or_b32 v165, v[vgprValuC+167], v7, v[vgprValuC+166] // pack two bf16 to dword
s_lshl_b32  s54, s[sgprStrideD1J], 1               // incToNextRow: Scale by BPE
	;; [unrolled: 24-line block ×3, first 2 shown]
s_add_u32  s[sgprSrdD+0], s[sgprSrdD+0], s54       // incToNextRow: gra SRD += inc(lower)
s_addc_u32  s[sgprSrdD+1], s[sgprSrdD+1], 0        // incToNextRow: gra SRD += inc(upper)
_buffer_store_b64 v[168:169], v10, s[sgprSrdD:sgprSrdD+3], 0, offen, offset:0,  sc0 sc1 // store D
v_cmp_u_f32 s[54:55], v[vgprValuC+172], v[vgprValuC+172] // check Nan
v_bfe_u32 v6, v[vgprValuC+172], 16, 1              // Non-Nan case: store lsb of bf16
v_add3_u32 v6, v[vgprValuC+172], v6, v9            // Non-Nan case: add lsb and the increment for rounding
v_cndmask_b32 v[vgprValuC+172], v6, v8, s[54:55]   // 
v_lshrrev_b32 v[vgprValuC+172], 16, v[vgprValuC+172] // convert C to bf16
v_cmp_u_f32 s[54:55], v[vgprValuC+173], v[vgprValuC+173] // check Nan
v_bfe_u32 v6, v[vgprValuC+173], 16, 1              // Non-Nan case: store lsb of bf16
v_add3_u32 v6, v[vgprValuC+173], v6, v9            // Non-Nan case: add lsb and the increment for rounding
v_cndmask_b32 v[vgprValuC+173], v6, v8, s[54:55]   // 
v_and_or_b32 v172, v[vgprValuC+173], v7, v[vgprValuC+172] // pack two bf16 to dword
v_cmp_u_f32 s[54:55], v[vgprValuC+174], v[vgprValuC+174] // check Nan
v_bfe_u32 v6, v[vgprValuC+174], 16, 1              // Non-Nan case: store lsb of bf16
v_add3_u32 v6, v[vgprValuC+174], v6, v9            // Non-Nan case: add lsb and the increment for rounding
v_cndmask_b32 v[vgprValuC+174], v6, v8, s[54:55]   // 
v_lshrrev_b32 v[vgprValuC+174], 16, v[vgprValuC+174] // convert C to bf16
v_cmp_u_f32 s[54:55], v[vgprValuC+175], v[vgprValuC+175] // check Nan
v_bfe_u32 v6, v[vgprValuC+175], 16, 1              // Non-Nan case: store lsb of bf16
v_add3_u32 v6, v[vgprValuC+175], v6, v9            // Non-Nan case: add lsb and the increment for rounding
v_cndmask_b32 v[vgprValuC+175], v6, v8, s[54:55]   // 
v_and_or_b32 v173, v[vgprValuC+175], v7, v[vgprValuC+174] // pack two bf16 to dword
s_mul_i32 s54, s[sgprStrideD1J], 26                // scale StrideD *= numRows(13) * bpe
s_add_u32  s[sgprSrdD+0], s[sgprSrdD+0], s54       // incToNextRow: gra SRD += inc(lower)
s_addc_u32  s[sgprSrdD+1], s[sgprSrdD+1], 0        // incToNextRow: gra SRD += inc(upper)
_buffer_store_b64 v[172:173], v10, s[sgprSrdD:sgprSrdD+3], 0, offen, offset:0,  sc0 sc1 // store D
v_cmp_u_f32 s[54:55], v[vgprValuC+176], v[vgprValuC+176] // check Nan
v_bfe_u32 v6, v[vgprValuC+176], 16, 1              // Non-Nan case: store lsb of bf16
v_add3_u32 v6, v[vgprValuC+176], v6, v9            // Non-Nan case: add lsb and the increment for rounding
v_cndmask_b32 v[vgprValuC+176], v6, v8, s[54:55]   // 
v_lshrrev_b32 v[vgprValuC+176], 16, v[vgprValuC+176] // convert C to bf16
v_cmp_u_f32 s[54:55], v[vgprValuC+177], v[vgprValuC+177] // check Nan
v_bfe_u32 v6, v[vgprValuC+177], 16, 1              // Non-Nan case: store lsb of bf16
v_add3_u32 v6, v[vgprValuC+177], v6, v9            // Non-Nan case: add lsb and the increment for rounding
v_cndmask_b32 v[vgprValuC+177], v6, v8, s[54:55]   // 
v_and_or_b32 v176, v[vgprValuC+177], v7, v[vgprValuC+176] // pack two bf16 to dword
v_cmp_u_f32 s[54:55], v[vgprValuC+178], v[vgprValuC+178] // check Nan
v_bfe_u32 v6, v[vgprValuC+178], 16, 1              // Non-Nan case: store lsb of bf16
v_add3_u32 v6, v[vgprValuC+178], v6, v9            // Non-Nan case: add lsb and the increment for rounding
v_cndmask_b32 v[vgprValuC+178], v6, v8, s[54:55]   // 
v_lshrrev_b32 v[vgprValuC+178], 16, v[vgprValuC+178] // convert C to bf16
v_cmp_u_f32 s[54:55], v[vgprValuC+179], v[vgprValuC+179] // check Nan
v_bfe_u32 v6, v[vgprValuC+179], 16, 1              // Non-Nan case: store lsb of bf16
v_add3_u32 v6, v[vgprValuC+179], v6, v9            // Non-Nan case: add lsb and the increment for rounding
v_cndmask_b32 v[vgprValuC+179], v6, v8, s[54:55]   // 
v_and_or_b32 v177, v[vgprValuC+179], v7, v[vgprValuC+178] // pack two bf16 to dword
s_lshl_b32  s54, s[sgprStrideD1J], 1               // incToNextRow: Scale by BPE
s_add_u32  s[sgprSrdD+0], s[sgprSrdD+0], s54       // incToNextRow: gra SRD += inc(lower)
s_addc_u32  s[sgprSrdD+1], s[sgprSrdD+1], 0        // incToNextRow: gra SRD += inc(upper)
_buffer_store_b64 v[176:177], v10, s[sgprSrdD:sgprSrdD+3], 0, offen, offset:0,  sc0 sc1 // store D
v_cmp_u_f32 s[54:55], v[vgprValuC+180], v[vgprValuC+180] // check Nan
v_bfe_u32 v6, v[vgprValuC+180], 16, 1              // Non-Nan case: store lsb of bf16
v_add3_u32 v6, v[vgprValuC+180], v6, v9            // Non-Nan case: add lsb and the increment for rounding
v_cndmask_b32 v[vgprValuC+180], v6, v8, s[54:55]   // 
v_lshrrev_b32 v[vgprValuC+180], 16, v[vgprValuC+180] // convert C to bf16
v_cmp_u_f32 s[54:55], v[vgprValuC+181], v[vgprValuC+181] // check Nan
v_bfe_u32 v6, v[vgprValuC+181], 16, 1              // Non-Nan case: store lsb of bf16
v_add3_u32 v6, v[vgprValuC+181], v6, v9            // Non-Nan case: add lsb and the increment for rounding
v_cndmask_b32 v[vgprValuC+181], v6, v8, s[54:55]   // 
v_and_or_b32 v180, v[vgprValuC+181], v7, v[vgprValuC+180] // pack two bf16 to dword
v_cmp_u_f32 s[54:55], v[vgprValuC+182], v[vgprValuC+182] // check Nan
v_bfe_u32 v6, v[vgprValuC+182], 16, 1              // Non-Nan case: store lsb of bf16
v_add3_u32 v6, v[vgprValuC+182], v6, v9            // Non-Nan case: add lsb and the increment for rounding
v_cndmask_b32 v[vgprValuC+182], v6, v8, s[54:55]   // 
v_lshrrev_b32 v[vgprValuC+182], 16, v[vgprValuC+182] // convert C to bf16
v_cmp_u_f32 s[54:55], v[vgprValuC+183], v[vgprValuC+183] // check Nan
v_bfe_u32 v6, v[vgprValuC+183], 16, 1              // Non-Nan case: store lsb of bf16
v_add3_u32 v6, v[vgprValuC+183], v6, v9            // Non-Nan case: add lsb and the increment for rounding
v_cndmask_b32 v[vgprValuC+183], v6, v8, s[54:55]   // 
v_and_or_b32 v181, v[vgprValuC+183], v7, v[vgprValuC+182] // pack two bf16 to dword
s_lshl_b32  s54, s[sgprStrideD1J], 1               // incToNextRow: Scale by BPE
	;; [unrolled: 24-line block ×3, first 2 shown]
s_add_u32  s[sgprSrdD+0], s[sgprSrdD+0], s54       // incToNextRow: gra SRD += inc(lower)
s_addc_u32  s[sgprSrdD+1], s[sgprSrdD+1], 0        // incToNextRow: gra SRD += inc(upper)
_buffer_store_b64 v[184:185], v10, s[sgprSrdD:sgprSrdD+3], 0, offen, offset:0,  sc0 sc1 // store D
v_cmp_u_f32 s[54:55], v[vgprValuC+188], v[vgprValuC+188] // check Nan
v_bfe_u32 v6, v[vgprValuC+188], 16, 1              // Non-Nan case: store lsb of bf16
v_add3_u32 v6, v[vgprValuC+188], v6, v9            // Non-Nan case: add lsb and the increment for rounding
v_cndmask_b32 v[vgprValuC+188], v6, v8, s[54:55]   // 
v_lshrrev_b32 v[vgprValuC+188], 16, v[vgprValuC+188] // convert C to bf16
v_cmp_u_f32 s[54:55], v[vgprValuC+189], v[vgprValuC+189] // check Nan
v_bfe_u32 v6, v[vgprValuC+189], 16, 1              // Non-Nan case: store lsb of bf16
v_add3_u32 v6, v[vgprValuC+189], v6, v9            // Non-Nan case: add lsb and the increment for rounding
v_cndmask_b32 v[vgprValuC+189], v6, v8, s[54:55]   // 
v_and_or_b32 v188, v[vgprValuC+189], v7, v[vgprValuC+188] // pack two bf16 to dword
v_cmp_u_f32 s[54:55], v[vgprValuC+190], v[vgprValuC+190] // check Nan
v_bfe_u32 v6, v[vgprValuC+190], 16, 1              // Non-Nan case: store lsb of bf16
v_add3_u32 v6, v[vgprValuC+190], v6, v9            // Non-Nan case: add lsb and the increment for rounding
v_cndmask_b32 v[vgprValuC+190], v6, v8, s[54:55]   // 
v_lshrrev_b32 v[vgprValuC+190], 16, v[vgprValuC+190] // convert C to bf16
v_cmp_u_f32 s[54:55], v[vgprValuC+191], v[vgprValuC+191] // check Nan
v_bfe_u32 v6, v[vgprValuC+191], 16, 1              // Non-Nan case: store lsb of bf16
v_add3_u32 v6, v[vgprValuC+191], v6, v9            // Non-Nan case: add lsb and the increment for rounding
v_cndmask_b32 v[vgprValuC+191], v6, v8, s[54:55]   // 
v_and_or_b32 v189, v[vgprValuC+191], v7, v[vgprValuC+190] // pack two bf16 to dword
s_mul_i32 s54, s[sgprStrideD1J], 26                // scale StrideD *= numRows(13) * bpe
s_add_u32  s[sgprSrdD+0], s[sgprSrdD+0], s54       // incToNextRow: gra SRD += inc(lower)
s_addc_u32  s[sgprSrdD+1], s[sgprSrdD+1], 0        // incToNextRow: gra SRD += inc(upper)
_buffer_store_b64 v[188:189], v10, s[sgprSrdD:sgprSrdD+3], 0, offen, offset:0,  sc0 sc1 // store D
v_cmp_u_f32 s[54:55], v[vgprValuC+192], v[vgprValuC+192] // check Nan
v_bfe_u32 v6, v[vgprValuC+192], 16, 1              // Non-Nan case: store lsb of bf16
v_add3_u32 v6, v[vgprValuC+192], v6, v9            // Non-Nan case: add lsb and the increment for rounding
v_cndmask_b32 v[vgprValuC+192], v6, v8, s[54:55]   // 
v_lshrrev_b32 v[vgprValuC+192], 16, v[vgprValuC+192] // convert C to bf16
v_cmp_u_f32 s[54:55], v[vgprValuC+193], v[vgprValuC+193] // check Nan
v_bfe_u32 v6, v[vgprValuC+193], 16, 1              // Non-Nan case: store lsb of bf16
v_add3_u32 v6, v[vgprValuC+193], v6, v9            // Non-Nan case: add lsb and the increment for rounding
v_cndmask_b32 v[vgprValuC+193], v6, v8, s[54:55]   // 
v_and_or_b32 v192, v[vgprValuC+193], v7, v[vgprValuC+192] // pack two bf16 to dword
v_cmp_u_f32 s[54:55], v[vgprValuC+194], v[vgprValuC+194] // check Nan
v_bfe_u32 v6, v[vgprValuC+194], 16, 1              // Non-Nan case: store lsb of bf16
v_add3_u32 v6, v[vgprValuC+194], v6, v9            // Non-Nan case: add lsb and the increment for rounding
v_cndmask_b32 v[vgprValuC+194], v6, v8, s[54:55]   // 
v_lshrrev_b32 v[vgprValuC+194], 16, v[vgprValuC+194] // convert C to bf16
v_cmp_u_f32 s[54:55], v[vgprValuC+195], v[vgprValuC+195] // check Nan
v_bfe_u32 v6, v[vgprValuC+195], 16, 1              // Non-Nan case: store lsb of bf16
v_add3_u32 v6, v[vgprValuC+195], v6, v9            // Non-Nan case: add lsb and the increment for rounding
v_cndmask_b32 v[vgprValuC+195], v6, v8, s[54:55]   // 
v_and_or_b32 v193, v[vgprValuC+195], v7, v[vgprValuC+194] // pack two bf16 to dword
s_lshl_b32  s54, s[sgprStrideD1J], 1               // incToNextRow: Scale by BPE
s_add_u32  s[sgprSrdD+0], s[sgprSrdD+0], s54       // incToNextRow: gra SRD += inc(lower)
s_addc_u32  s[sgprSrdD+1], s[sgprSrdD+1], 0        // incToNextRow: gra SRD += inc(upper)
_buffer_store_b64 v[192:193], v10, s[sgprSrdD:sgprSrdD+3], 0, offen, offset:0,  sc0 sc1 // store D
v_cmp_u_f32 s[54:55], v[vgprValuC+196], v[vgprValuC+196] // check Nan
v_bfe_u32 v6, v[vgprValuC+196], 16, 1              // Non-Nan case: store lsb of bf16
v_add3_u32 v6, v[vgprValuC+196], v6, v9            // Non-Nan case: add lsb and the increment for rounding
v_cndmask_b32 v[vgprValuC+196], v6, v8, s[54:55]   // 
v_lshrrev_b32 v[vgprValuC+196], 16, v[vgprValuC+196] // convert C to bf16
v_cmp_u_f32 s[54:55], v[vgprValuC+197], v[vgprValuC+197] // check Nan
v_bfe_u32 v6, v[vgprValuC+197], 16, 1              // Non-Nan case: store lsb of bf16
v_add3_u32 v6, v[vgprValuC+197], v6, v9            // Non-Nan case: add lsb and the increment for rounding
v_cndmask_b32 v[vgprValuC+197], v6, v8, s[54:55]   // 
v_and_or_b32 v196, v[vgprValuC+197], v7, v[vgprValuC+196] // pack two bf16 to dword
v_cmp_u_f32 s[54:55], v[vgprValuC+198], v[vgprValuC+198] // check Nan
v_bfe_u32 v6, v[vgprValuC+198], 16, 1              // Non-Nan case: store lsb of bf16
v_add3_u32 v6, v[vgprValuC+198], v6, v9            // Non-Nan case: add lsb and the increment for rounding
v_cndmask_b32 v[vgprValuC+198], v6, v8, s[54:55]   // 
v_lshrrev_b32 v[vgprValuC+198], 16, v[vgprValuC+198] // convert C to bf16
v_cmp_u_f32 s[54:55], v[vgprValuC+199], v[vgprValuC+199] // check Nan
v_bfe_u32 v6, v[vgprValuC+199], 16, 1              // Non-Nan case: store lsb of bf16
v_add3_u32 v6, v[vgprValuC+199], v6, v9            // Non-Nan case: add lsb and the increment for rounding
v_cndmask_b32 v[vgprValuC+199], v6, v8, s[54:55]   // 
v_and_or_b32 v197, v[vgprValuC+199], v7, v[vgprValuC+198] // pack two bf16 to dword
s_lshl_b32  s54, s[sgprStrideD1J], 1               // incToNextRow: Scale by BPE
	;; [unrolled: 24-line block ×3, first 2 shown]
s_add_u32  s[sgprSrdD+0], s[sgprSrdD+0], s54       // incToNextRow: gra SRD += inc(lower)
s_addc_u32  s[sgprSrdD+1], s[sgprSrdD+1], 0        // incToNextRow: gra SRD += inc(upper)
_buffer_store_b64 v[200:201], v10, s[sgprSrdD:sgprSrdD+3], 0, offen, offset:0,  sc0 sc1 // store D
v_cmp_u_f32 s[54:55], v[vgprValuC+204], v[vgprValuC+204] // check Nan
v_bfe_u32 v6, v[vgprValuC+204], 16, 1              // Non-Nan case: store lsb of bf16
v_add3_u32 v6, v[vgprValuC+204], v6, v9            // Non-Nan case: add lsb and the increment for rounding
v_cndmask_b32 v[vgprValuC+204], v6, v8, s[54:55]   // 
v_lshrrev_b32 v[vgprValuC+204], 16, v[vgprValuC+204] // convert C to bf16
v_cmp_u_f32 s[54:55], v[vgprValuC+205], v[vgprValuC+205] // check Nan
v_bfe_u32 v6, v[vgprValuC+205], 16, 1              // Non-Nan case: store lsb of bf16
v_add3_u32 v6, v[vgprValuC+205], v6, v9            // Non-Nan case: add lsb and the increment for rounding
v_cndmask_b32 v[vgprValuC+205], v6, v8, s[54:55]   // 
v_and_or_b32 v204, v[vgprValuC+205], v7, v[vgprValuC+204] // pack two bf16 to dword
v_cmp_u_f32 s[54:55], v[vgprValuC+206], v[vgprValuC+206] // check Nan
v_bfe_u32 v6, v[vgprValuC+206], 16, 1              // Non-Nan case: store lsb of bf16
v_add3_u32 v6, v[vgprValuC+206], v6, v9            // Non-Nan case: add lsb and the increment for rounding
v_cndmask_b32 v[vgprValuC+206], v6, v8, s[54:55]   // 
v_lshrrev_b32 v[vgprValuC+206], 16, v[vgprValuC+206] // convert C to bf16
v_cmp_u_f32 s[54:55], v[vgprValuC+207], v[vgprValuC+207] // check Nan
v_bfe_u32 v6, v[vgprValuC+207], 16, 1              // Non-Nan case: store lsb of bf16
v_add3_u32 v6, v[vgprValuC+207], v6, v9            // Non-Nan case: add lsb and the increment for rounding
v_cndmask_b32 v[vgprValuC+207], v6, v8, s[54:55]   // 
v_and_or_b32 v205, v[vgprValuC+207], v7, v[vgprValuC+206] // pack two bf16 to dword
s_mul_i32 s54, s[sgprStrideD1J], 26                // scale StrideD *= numRows(13) * bpe
s_add_u32  s[sgprSrdD+0], s[sgprSrdD+0], s54       // incToNextRow: gra SRD += inc(lower)
s_addc_u32  s[sgprSrdD+1], s[sgprSrdD+1], 0        // incToNextRow: gra SRD += inc(upper)
_buffer_store_b64 v[204:205], v10, s[sgprSrdD:sgprSrdD+3], 0, offen, offset:0,  sc0 sc1 // store D
v_cmp_u_f32 s[54:55], v[vgprValuC+208], v[vgprValuC+208] // check Nan
v_bfe_u32 v6, v[vgprValuC+208], 16, 1              // Non-Nan case: store lsb of bf16
v_add3_u32 v6, v[vgprValuC+208], v6, v9            // Non-Nan case: add lsb and the increment for rounding
v_cndmask_b32 v[vgprValuC+208], v6, v8, s[54:55]   // 
v_lshrrev_b32 v[vgprValuC+208], 16, v[vgprValuC+208] // convert C to bf16
v_cmp_u_f32 s[54:55], v[vgprValuC+209], v[vgprValuC+209] // check Nan
v_bfe_u32 v6, v[vgprValuC+209], 16, 1              // Non-Nan case: store lsb of bf16
v_add3_u32 v6, v[vgprValuC+209], v6, v9            // Non-Nan case: add lsb and the increment for rounding
v_cndmask_b32 v[vgprValuC+209], v6, v8, s[54:55]   // 
v_and_or_b32 v208, v[vgprValuC+209], v7, v[vgprValuC+208] // pack two bf16 to dword
v_cmp_u_f32 s[54:55], v[vgprValuC+210], v[vgprValuC+210] // check Nan
v_bfe_u32 v6, v[vgprValuC+210], 16, 1              // Non-Nan case: store lsb of bf16
v_add3_u32 v6, v[vgprValuC+210], v6, v9            // Non-Nan case: add lsb and the increment for rounding
v_cndmask_b32 v[vgprValuC+210], v6, v8, s[54:55]   // 
v_lshrrev_b32 v[vgprValuC+210], 16, v[vgprValuC+210] // convert C to bf16
v_cmp_u_f32 s[54:55], v[vgprValuC+211], v[vgprValuC+211] // check Nan
v_bfe_u32 v6, v[vgprValuC+211], 16, 1              // Non-Nan case: store lsb of bf16
v_add3_u32 v6, v[vgprValuC+211], v6, v9            // Non-Nan case: add lsb and the increment for rounding
v_cndmask_b32 v[vgprValuC+211], v6, v8, s[54:55]   // 
v_and_or_b32 v209, v[vgprValuC+211], v7, v[vgprValuC+210] // pack two bf16 to dword
s_lshl_b32  s54, s[sgprStrideD1J], 1               // incToNextRow: Scale by BPE
s_add_u32  s[sgprSrdD+0], s[sgprSrdD+0], s54       // incToNextRow: gra SRD += inc(lower)
s_addc_u32  s[sgprSrdD+1], s[sgprSrdD+1], 0        // incToNextRow: gra SRD += inc(upper)
_buffer_store_b64 v[208:209], v10, s[sgprSrdD:sgprSrdD+3], 0, offen, offset:0,  sc0 sc1 // store D
v_cmp_u_f32 s[54:55], v[vgprValuC+212], v[vgprValuC+212] // check Nan
v_bfe_u32 v6, v[vgprValuC+212], 16, 1              // Non-Nan case: store lsb of bf16
v_add3_u32 v6, v[vgprValuC+212], v6, v9            // Non-Nan case: add lsb and the increment for rounding
v_cndmask_b32 v[vgprValuC+212], v6, v8, s[54:55]   // 
v_lshrrev_b32 v[vgprValuC+212], 16, v[vgprValuC+212] // convert C to bf16
v_cmp_u_f32 s[54:55], v[vgprValuC+213], v[vgprValuC+213] // check Nan
v_bfe_u32 v6, v[vgprValuC+213], 16, 1              // Non-Nan case: store lsb of bf16
v_add3_u32 v6, v[vgprValuC+213], v6, v9            // Non-Nan case: add lsb and the increment for rounding
v_cndmask_b32 v[vgprValuC+213], v6, v8, s[54:55]   // 
v_and_or_b32 v212, v[vgprValuC+213], v7, v[vgprValuC+212] // pack two bf16 to dword
v_cmp_u_f32 s[54:55], v[vgprValuC+214], v[vgprValuC+214] // check Nan
v_bfe_u32 v6, v[vgprValuC+214], 16, 1              // Non-Nan case: store lsb of bf16
v_add3_u32 v6, v[vgprValuC+214], v6, v9            // Non-Nan case: add lsb and the increment for rounding
v_cndmask_b32 v[vgprValuC+214], v6, v8, s[54:55]   // 
v_lshrrev_b32 v[vgprValuC+214], 16, v[vgprValuC+214] // convert C to bf16
v_cmp_u_f32 s[54:55], v[vgprValuC+215], v[vgprValuC+215] // check Nan
v_bfe_u32 v6, v[vgprValuC+215], 16, 1              // Non-Nan case: store lsb of bf16
v_add3_u32 v6, v[vgprValuC+215], v6, v9            // Non-Nan case: add lsb and the increment for rounding
v_cndmask_b32 v[vgprValuC+215], v6, v8, s[54:55]   // 
v_and_or_b32 v213, v[vgprValuC+215], v7, v[vgprValuC+214] // pack two bf16 to dword
s_lshl_b32  s54, s[sgprStrideD1J], 1               // incToNextRow: Scale by BPE
	;; [unrolled: 24-line block ×3, first 2 shown]
s_add_u32  s[sgprSrdD+0], s[sgprSrdD+0], s54       // incToNextRow: gra SRD += inc(lower)
s_addc_u32  s[sgprSrdD+1], s[sgprSrdD+1], 0        // incToNextRow: gra SRD += inc(upper)
_buffer_store_b64 v[216:217], v10, s[sgprSrdD:sgprSrdD+3], 0, offen, offset:0,  sc0 sc1 // store D
v_cmp_u_f32 s[54:55], v[vgprValuC+220], v[vgprValuC+220] // check Nan
v_bfe_u32 v6, v[vgprValuC+220], 16, 1              // Non-Nan case: store lsb of bf16
v_add3_u32 v6, v[vgprValuC+220], v6, v9            // Non-Nan case: add lsb and the increment for rounding
v_cndmask_b32 v[vgprValuC+220], v6, v8, s[54:55]   // 
v_lshrrev_b32 v[vgprValuC+220], 16, v[vgprValuC+220] // convert C to bf16
v_cmp_u_f32 s[54:55], v[vgprValuC+221], v[vgprValuC+221] // check Nan
v_bfe_u32 v6, v[vgprValuC+221], 16, 1              // Non-Nan case: store lsb of bf16
v_add3_u32 v6, v[vgprValuC+221], v6, v9            // Non-Nan case: add lsb and the increment for rounding
v_cndmask_b32 v[vgprValuC+221], v6, v8, s[54:55]   // 
v_and_or_b32 v220, v[vgprValuC+221], v7, v[vgprValuC+220] // pack two bf16 to dword
v_cmp_u_f32 s[54:55], v[vgprValuC+222], v[vgprValuC+222] // check Nan
v_bfe_u32 v6, v[vgprValuC+222], 16, 1              // Non-Nan case: store lsb of bf16
v_add3_u32 v6, v[vgprValuC+222], v6, v9            // Non-Nan case: add lsb and the increment for rounding
v_cndmask_b32 v[vgprValuC+222], v6, v8, s[54:55]   // 
v_lshrrev_b32 v[vgprValuC+222], 16, v[vgprValuC+222] // convert C to bf16
v_cmp_u_f32 s[54:55], v[vgprValuC+223], v[vgprValuC+223] // check Nan
v_bfe_u32 v6, v[vgprValuC+223], 16, 1              // Non-Nan case: store lsb of bf16
v_add3_u32 v6, v[vgprValuC+223], v6, v9            // Non-Nan case: add lsb and the increment for rounding
v_cndmask_b32 v[vgprValuC+223], v6, v8, s[54:55]   // 
v_and_or_b32 v221, v[vgprValuC+223], v7, v[vgprValuC+222] // pack two bf16 to dword
s_mul_i32 s54, s[sgprStrideD1J], 26                // scale StrideD *= numRows(13) * bpe
s_add_u32  s[sgprSrdD+0], s[sgprSrdD+0], s54       // incToNextRow: gra SRD += inc(lower)
s_addc_u32  s[sgprSrdD+1], s[sgprSrdD+1], 0        // incToNextRow: gra SRD += inc(upper)
_buffer_store_b64 v[220:221], v10, s[sgprSrdD:sgprSrdD+3], 0, offen, offset:0,  sc0 sc1 // store D
v_cmp_u_f32 s[54:55], v[vgprValuC+224], v[vgprValuC+224] // check Nan
v_bfe_u32 v6, v[vgprValuC+224], 16, 1              // Non-Nan case: store lsb of bf16
v_add3_u32 v6, v[vgprValuC+224], v6, v9            // Non-Nan case: add lsb and the increment for rounding
v_cndmask_b32 v[vgprValuC+224], v6, v8, s[54:55]   // 
v_lshrrev_b32 v[vgprValuC+224], 16, v[vgprValuC+224] // convert C to bf16
v_cmp_u_f32 s[54:55], v[vgprValuC+225], v[vgprValuC+225] // check Nan
v_bfe_u32 v6, v[vgprValuC+225], 16, 1              // Non-Nan case: store lsb of bf16
v_add3_u32 v6, v[vgprValuC+225], v6, v9            // Non-Nan case: add lsb and the increment for rounding
v_cndmask_b32 v[vgprValuC+225], v6, v8, s[54:55]   // 
v_and_or_b32 v224, v[vgprValuC+225], v7, v[vgprValuC+224] // pack two bf16 to dword
v_cmp_u_f32 s[54:55], v[vgprValuC+226], v[vgprValuC+226] // check Nan
v_bfe_u32 v6, v[vgprValuC+226], 16, 1              // Non-Nan case: store lsb of bf16
v_add3_u32 v6, v[vgprValuC+226], v6, v9            // Non-Nan case: add lsb and the increment for rounding
v_cndmask_b32 v[vgprValuC+226], v6, v8, s[54:55]   // 
v_lshrrev_b32 v[vgprValuC+226], 16, v[vgprValuC+226] // convert C to bf16
v_cmp_u_f32 s[54:55], v[vgprValuC+227], v[vgprValuC+227] // check Nan
v_bfe_u32 v6, v[vgprValuC+227], 16, 1              // Non-Nan case: store lsb of bf16
v_add3_u32 v6, v[vgprValuC+227], v6, v9            // Non-Nan case: add lsb and the increment for rounding
v_cndmask_b32 v[vgprValuC+227], v6, v8, s[54:55]   // 
v_and_or_b32 v225, v[vgprValuC+227], v7, v[vgprValuC+226] // pack two bf16 to dword
s_lshl_b32  s54, s[sgprStrideD1J], 1               // incToNextRow: Scale by BPE
s_add_u32  s[sgprSrdD+0], s[sgprSrdD+0], s54       // incToNextRow: gra SRD += inc(lower)
s_addc_u32  s[sgprSrdD+1], s[sgprSrdD+1], 0        // incToNextRow: gra SRD += inc(upper)
_buffer_store_b64 v[224:225], v10, s[sgprSrdD:sgprSrdD+3], 0, offen, offset:0,  sc0 sc1 // store D
v_cmp_u_f32 s[54:55], v[vgprValuC+228], v[vgprValuC+228] // check Nan
v_bfe_u32 v6, v[vgprValuC+228], 16, 1              // Non-Nan case: store lsb of bf16
v_add3_u32 v6, v[vgprValuC+228], v6, v9            // Non-Nan case: add lsb and the increment for rounding
v_cndmask_b32 v[vgprValuC+228], v6, v8, s[54:55]   // 
v_lshrrev_b32 v[vgprValuC+228], 16, v[vgprValuC+228] // convert C to bf16
v_cmp_u_f32 s[54:55], v[vgprValuC+229], v[vgprValuC+229] // check Nan
v_bfe_u32 v6, v[vgprValuC+229], 16, 1              // Non-Nan case: store lsb of bf16
v_add3_u32 v6, v[vgprValuC+229], v6, v9            // Non-Nan case: add lsb and the increment for rounding
v_cndmask_b32 v[vgprValuC+229], v6, v8, s[54:55]   // 
v_and_or_b32 v228, v[vgprValuC+229], v7, v[vgprValuC+228] // pack two bf16 to dword
v_cmp_u_f32 s[54:55], v[vgprValuC+230], v[vgprValuC+230] // check Nan
v_bfe_u32 v6, v[vgprValuC+230], 16, 1              // Non-Nan case: store lsb of bf16
v_add3_u32 v6, v[vgprValuC+230], v6, v9            // Non-Nan case: add lsb and the increment for rounding
v_cndmask_b32 v[vgprValuC+230], v6, v8, s[54:55]   // 
v_lshrrev_b32 v[vgprValuC+230], 16, v[vgprValuC+230] // convert C to bf16
v_cmp_u_f32 s[54:55], v[vgprValuC+231], v[vgprValuC+231] // check Nan
v_bfe_u32 v6, v[vgprValuC+231], 16, 1              // Non-Nan case: store lsb of bf16
v_add3_u32 v6, v[vgprValuC+231], v6, v9            // Non-Nan case: add lsb and the increment for rounding
v_cndmask_b32 v[vgprValuC+231], v6, v8, s[54:55]   // 
v_and_or_b32 v229, v[vgprValuC+231], v7, v[vgprValuC+230] // pack two bf16 to dword
s_lshl_b32  s54, s[sgprStrideD1J], 1               // incToNextRow: Scale by BPE
	;; [unrolled: 24-line block ×3, first 2 shown]
s_add_u32  s[sgprSrdD+0], s[sgprSrdD+0], s54       // incToNextRow: gra SRD += inc(lower)
s_addc_u32  s[sgprSrdD+1], s[sgprSrdD+1], 0        // incToNextRow: gra SRD += inc(upper)
_buffer_store_b64 v[232:233], v10, s[sgprSrdD:sgprSrdD+3], 0, offen, offset:0,  sc0 sc1 // store D
s_nop 0                                            // 1 wait state required when next inst writes vgprs held by previous dwordx4 store inst
s_branch label_GW_End_42                           // jump to end
GW_B0_E1_34:

/* edge=1, allocate 6 sgpr. perBatchTmpS=4 perBatchMaskS=2 perElementMaskS=0 elementsPerBatch=46 */
/* optSingleColVgpr=0 optSharedColVgpr=0 optSGPRUsage=BufferLoad_Edge_Mask optSrdIncForRow=0 */

/******************************************/
/* Global Write Alpha Edge Batch #0 (d1,d0,vc1,vc0) = */
/*    (0,0,0,0:vw4); (0,0,1,0:vw4); (0,0,2,0:vw4); (0,0,3,0:vw4); (1,0,0,0:vw4); (1,0,1,0:vw4); (1,0,2,0:vw4); (1,0,3,0:vw4); (2,0,0,0:vw4); (2,0,1,0:vw4); (2,0,2,0:vw4); (2,0,3,0:vw4); (3,0,0,0:vw4); (3,0,1,0:vw4); (3,0,2,0:vw4); (3,0,3,0:vw4); (4,0,0,0:vw4); (4,0,1,0:vw4); (4,0,2,0:vw4); (4,0,3,0:vw4); (5,0,0,0:vw4); (5,0,1,0:vw4); (5,0,2,0:vw4); (5,0,3,0:vw4); (6,0,0,0:vw4); (6,0,1,0:vw4); (6,0,2,0:vw4); (6,0,3,0:vw4); (7,0,0,0:vw4); (7,0,1,0:vw4); (7,0,2,0:vw4); (7,0,3,0:vw4); (8,0,0,0:vw4); (8,0,1,0:vw4); (8,0,2,0:vw4); (8,0,3,0:vw4); (9,0,0,0:vw4); (9,0,1,0:vw4); (9,0,2,0:vw4); (9,0,3,0:vw4); (10,0,0,0:vw4); (10,0,1,0:vw4); (10,0,2,0:vw4); (10,0,3,0:vw4); (11,0,0,0:vw4); (11,0,1,0:vw4) */
/******************************************/

/* calc coords, apply mask, and issue loads (if necessary) */
/* (d1,vc1,d0,vc0)=(0,0,0,0) */
v_cmp_lt_u32 s[54:55], v0, s[sgprSizeI]            // coord0 < size0
v_cmp_lt_u32 s[58:59], v1, s[sgprSizeJ]            // coord1 < size1
s_and_b64 s[58:59], s[54:55], s[58:59]             // in0 && in1
_v_add_lshl_u32 v10, v3, v0, 0x1                   // scaleToBpe: accumulate d0 lower and *= bpe into Cin addr
v_cndmask_b32 v10, -1, v10, s[58:59]               // LDD clip if OOB. offset
/* (d1,vc1,d0,vc0)=(0,1,0,0) */
_v_add_co_u32 v1, vcc, v1, 1                       // coord1.1: coord1Vgpr += d1*sg1*VW + vc1

/* Fix for UseInitialStridesCD, emitAddressSetupCode */
_v_add_u32 v2, v2, s[sgprStrideC1J]                // ROWINC- Move cinRowPtr to next row
_v_add_u32 v3, v3, s[sgprStrideD1J]                // Move coutRowPtr to next row
v_cmp_lt_u32 s[54:55], v0, s[sgprSizeI]            // coord0 < size0
v_cmp_lt_u32 s[58:59], v1, s[sgprSizeJ]            // coord1 < size1
s_and_b64 s[58:59], s[54:55], s[58:59]             // in0 && in1
_v_add_lshl_u32 v11, v3, v0, 0x1                   // scaleToBpe: accumulate d0 lower and *= bpe into Cin addr
v_cndmask_b32 v11, -1, v11, s[58:59]               // LDD clip if OOB. offset
/* (d1,vc1,d0,vc0)=(0,2,0,0) */
_v_add_co_u32 v1, vcc, v1, 1                       // coord1.1: coord1Vgpr += d1*sg1*VW + vc1

/* Fix for UseInitialStridesCD, emitAddressSetupCode */
_v_add_u32 v2, v2, s[sgprStrideC1J]                // ROWINC- Move cinRowPtr to next row
_v_add_u32 v3, v3, s[sgprStrideD1J]                // Move coutRowPtr to next row
v_cmp_lt_u32 s[54:55], v0, s[sgprSizeI]            // coord0 < size0
v_cmp_lt_u32 s[58:59], v1, s[sgprSizeJ]            // coord1 < size1
s_and_b64 s[58:59], s[54:55], s[58:59]             // in0 && in1
_v_add_lshl_u32 v20, v3, v0, 0x1                   // scaleToBpe: accumulate d0 lower and *= bpe into Cin addr
v_cndmask_b32 v20, -1, v20, s[58:59]               // LDD clip if OOB. offset
/* (d1,vc1,d0,vc0)=(0,3,0,0) */
_v_add_co_u32 v1, vcc, v1, 1                       // coord1.1: coord1Vgpr += d1*sg1*VW + vc1

/* Fix for UseInitialStridesCD, emitAddressSetupCode */
_v_add_u32 v2, v2, s[sgprStrideC1J]                // ROWINC- Move cinRowPtr to next row
_v_add_u32 v3, v3, s[sgprStrideD1J]                // Move coutRowPtr to next row
v_cmp_lt_u32 s[54:55], v0, s[sgprSizeI]            // coord0 < size0
v_cmp_lt_u32 s[58:59], v1, s[sgprSizeJ]            // coord1 < size1
s_and_b64 s[58:59], s[54:55], s[58:59]             // in0 && in1
_v_add_lshl_u32 v21, v3, v0, 0x1                   // scaleToBpe: accumulate d0 lower and *= bpe into Cin addr
v_cndmask_b32 v21, -1, v21, s[58:59]               // LDD clip if OOB. offset
/* (d1,vc1,d0,vc0)=(1,0,0,0) */
_v_add_co_u32 v1, vcc, v1, 13                      // coord1.1: coord1Vgpr += d1*sg1*VW + vc1

/* Fix for UseInitialStridesCD, emitAddressSetupCode */
s_mul_i32 s54, s[sgprStrideC1J], 13                // scale stride
_v_add_u32 v2, v2, s54                             // ROWINC- Move cinRowPtr to next row
s_mul_i32 s54, s[sgprStrideD1J], 13                // scale stride
_v_add_u32 v3, v3, s54                             // Move coutRowPtr to next row
v_cmp_lt_u32 s[54:55], v0, s[sgprSizeI]            // coord0 < size0
v_cmp_lt_u32 s[58:59], v1, s[sgprSizeJ]            // coord1 < size1
s_and_b64 s[58:59], s[54:55], s[58:59]             // in0 && in1
_v_add_lshl_u32 v22, v3, v0, 0x1                   // scaleToBpe: accumulate d0 lower and *= bpe into Cin addr
v_cndmask_b32 v22, -1, v22, s[58:59]               // LDD clip if OOB. offset
/* (d1,vc1,d0,vc0)=(1,1,0,0) */
_v_add_co_u32 v1, vcc, v1, 1                       // coord1.1: coord1Vgpr += d1*sg1*VW + vc1

/* Fix for UseInitialStridesCD, emitAddressSetupCode */
_v_add_u32 v2, v2, s[sgprStrideC1J]                // ROWINC- Move cinRowPtr to next row
_v_add_u32 v3, v3, s[sgprStrideD1J]                // Move coutRowPtr to next row
v_cmp_lt_u32 s[54:55], v0, s[sgprSizeI]            // coord0 < size0
v_cmp_lt_u32 s[58:59], v1, s[sgprSizeJ]            // coord1 < size1
s_and_b64 s[58:59], s[54:55], s[58:59]             // in0 && in1
_v_add_lshl_u32 v23, v3, v0, 0x1                   // scaleToBpe: accumulate d0 lower and *= bpe into Cin addr
v_cndmask_b32 v23, -1, v23, s[58:59]               // LDD clip if OOB. offset
/* (d1,vc1,d0,vc0)=(1,2,0,0) */
_v_add_co_u32 v1, vcc, v1, 1                       // coord1.1: coord1Vgpr += d1*sg1*VW + vc1

/* Fix for UseInitialStridesCD, emitAddressSetupCode */
_v_add_u32 v2, v2, s[sgprStrideC1J]                // ROWINC- Move cinRowPtr to next row
_v_add_u32 v3, v3, s[sgprStrideD1J]                // Move coutRowPtr to next row
v_cmp_lt_u32 s[54:55], v0, s[sgprSizeI]            // coord0 < size0
v_cmp_lt_u32 s[58:59], v1, s[sgprSizeJ]            // coord1 < size1
s_and_b64 s[58:59], s[54:55], s[58:59]             // in0 && in1
_v_add_lshl_u32 v40, v3, v0, 0x1                   // scaleToBpe: accumulate d0 lower and *= bpe into Cin addr
v_cndmask_b32 v40, -1, v40, s[58:59]               // LDD clip if OOB. offset
/* (d1,vc1,d0,vc0)=(1,3,0,0) */
_v_add_co_u32 v1, vcc, v1, 1                       // coord1.1: coord1Vgpr += d1*sg1*VW + vc1

/* Fix for UseInitialStridesCD, emitAddressSetupCode */
_v_add_u32 v2, v2, s[sgprStrideC1J]                // ROWINC- Move cinRowPtr to next row
_v_add_u32 v3, v3, s[sgprStrideD1J]                // Move coutRowPtr to next row
v_cmp_lt_u32 s[54:55], v0, s[sgprSizeI]            // coord0 < size0
v_cmp_lt_u32 s[58:59], v1, s[sgprSizeJ]            // coord1 < size1
s_and_b64 s[58:59], s[54:55], s[58:59]             // in0 && in1
_v_add_lshl_u32 v41, v3, v0, 0x1                   // scaleToBpe: accumulate d0 lower and *= bpe into Cin addr
v_cndmask_b32 v41, -1, v41, s[58:59]               // LDD clip if OOB. offset
/* (d1,vc1,d0,vc0)=(2,0,0,0) */
_v_add_co_u32 v1, vcc, v1, 13                      // coord1.1: coord1Vgpr += d1*sg1*VW + vc1

/* Fix for UseInitialStridesCD, emitAddressSetupCode */
s_mul_i32 s54, s[sgprStrideC1J], 13                // scale stride
_v_add_u32 v2, v2, s54                             // ROWINC- Move cinRowPtr to next row
s_mul_i32 s54, s[sgprStrideD1J], 13                // scale stride
_v_add_u32 v3, v3, s54                             // Move coutRowPtr to next row
	;; [unrolled: 46-line block ×4, first 2 shown]
v_cmp_lt_u32 s[54:55], v0, s[sgprSizeI]            // coord0 < size0
v_cmp_lt_u32 s[58:59], v1, s[sgprSizeJ]            // coord1 < size1
s_and_b64 s[58:59], s[54:55], s[58:59]             // in0 && in1
_v_add_lshl_u32 v82, v3, v0, 0x1                   // scaleToBpe: accumulate d0 lower and *= bpe into Cin addr
v_cndmask_b32 v82, -1, v82, s[58:59]               // LDD clip if OOB. offset
/* (d1,vc1,d0,vc0)=(4,1,0,0) */
_v_add_co_u32 v1, vcc, v1, 1                       // coord1.1: coord1Vgpr += d1*sg1*VW + vc1

/* Fix for UseInitialStridesCD, emitAddressSetupCode */
_v_add_u32 v2, v2, s[sgprStrideC1J]                // ROWINC- Move cinRowPtr to next row
_v_add_u32 v3, v3, s[sgprStrideD1J]                // Move coutRowPtr to next row
v_cmp_lt_u32 s[54:55], v0, s[sgprSizeI]            // coord0 < size0
v_cmp_lt_u32 s[58:59], v1, s[sgprSizeJ]            // coord1 < size1
s_and_b64 s[58:59], s[54:55], s[58:59]             // in0 && in1
_v_add_lshl_u32 v83, v3, v0, 0x1                   // scaleToBpe: accumulate d0 lower and *= bpe into Cin addr
v_cndmask_b32 v83, -1, v83, s[58:59]               // LDD clip if OOB. offset
/* (d1,vc1,d0,vc0)=(4,2,0,0) */
_v_add_co_u32 v1, vcc, v1, 1                       // coord1.1: coord1Vgpr += d1*sg1*VW + vc1

/* Fix for UseInitialStridesCD, emitAddressSetupCode */
_v_add_u32 v2, v2, s[sgprStrideC1J]                // ROWINC- Move cinRowPtr to next row
_v_add_u32 v3, v3, s[sgprStrideD1J]                // Move coutRowPtr to next row
v_cmp_lt_u32 s[54:55], v0, s[sgprSizeI]            // coord0 < size0
v_cmp_lt_u32 s[58:59], v1, s[sgprSizeJ]            // coord1 < size1
s_and_b64 s[58:59], s[54:55], s[58:59]             // in0 && in1
_v_add_lshl_u32 v100, v3, v0, 0x1                  // scaleToBpe: accumulate d0 lower and *= bpe into Cin addr
v_cndmask_b32 v100, -1, v100, s[58:59]             // LDD clip if OOB. offset
/* (d1,vc1,d0,vc0)=(4,3,0,0) */
_v_add_co_u32 v1, vcc, v1, 1                       // coord1.1: coord1Vgpr += d1*sg1*VW + vc1

/* Fix for UseInitialStridesCD, emitAddressSetupCode */
_v_add_u32 v2, v2, s[sgprStrideC1J]                // ROWINC- Move cinRowPtr to next row
_v_add_u32 v3, v3, s[sgprStrideD1J]                // Move coutRowPtr to next row
v_cmp_lt_u32 s[54:55], v0, s[sgprSizeI]            // coord0 < size0
v_cmp_lt_u32 s[58:59], v1, s[sgprSizeJ]            // coord1 < size1
s_and_b64 s[58:59], s[54:55], s[58:59]             // in0 && in1
_v_add_lshl_u32 v101, v3, v0, 0x1                  // scaleToBpe: accumulate d0 lower and *= bpe into Cin addr
v_cndmask_b32 v101, -1, v101, s[58:59]             // LDD clip if OOB. offset
/* (d1,vc1,d0,vc0)=(5,0,0,0) */
_v_add_co_u32 v1, vcc, v1, 13                      // coord1.1: coord1Vgpr += d1*sg1*VW + vc1

/* Fix for UseInitialStridesCD, emitAddressSetupCode */
s_mul_i32 s54, s[sgprStrideC1J], 13                // scale stride
_v_add_u32 v2, v2, s54                             // ROWINC- Move cinRowPtr to next row
s_mul_i32 s54, s[sgprStrideD1J], 13                // scale stride
_v_add_u32 v3, v3, s54                             // Move coutRowPtr to next row
v_cmp_lt_u32 s[54:55], v0, s[sgprSizeI]            // coord0 < size0
v_cmp_lt_u32 s[58:59], v1, s[sgprSizeJ]            // coord1 < size1
s_and_b64 s[58:59], s[54:55], s[58:59]             // in0 && in1
_v_add_lshl_u32 v102, v3, v0, 0x1                  // scaleToBpe: accumulate d0 lower and *= bpe into Cin addr
v_cndmask_b32 v102, -1, v102, s[58:59]             // LDD clip if OOB. offset
/* (d1,vc1,d0,vc0)=(5,1,0,0) */
_v_add_co_u32 v1, vcc, v1, 1                       // coord1.1: coord1Vgpr += d1*sg1*VW + vc1

/* Fix for UseInitialStridesCD, emitAddressSetupCode */
_v_add_u32 v2, v2, s[sgprStrideC1J]                // ROWINC- Move cinRowPtr to next row
_v_add_u32 v3, v3, s[sgprStrideD1J]                // Move coutRowPtr to next row
v_cmp_lt_u32 s[54:55], v0, s[sgprSizeI]            // coord0 < size0
v_cmp_lt_u32 s[58:59], v1, s[sgprSizeJ]            // coord1 < size1
s_and_b64 s[58:59], s[54:55], s[58:59]             // in0 && in1
_v_add_lshl_u32 v103, v3, v0, 0x1                  // scaleToBpe: accumulate d0 lower and *= bpe into Cin addr
v_cndmask_b32 v103, -1, v103, s[58:59]             // LDD clip if OOB. offset
/* (d1,vc1,d0,vc0)=(5,2,0,0) */
_v_add_co_u32 v1, vcc, v1, 1                       // coord1.1: coord1Vgpr += d1*sg1*VW + vc1

/* Fix for UseInitialStridesCD, emitAddressSetupCode */
_v_add_u32 v2, v2, s[sgprStrideC1J]                // ROWINC- Move cinRowPtr to next row
_v_add_u32 v3, v3, s[sgprStrideD1J]                // Move coutRowPtr to next row
v_cmp_lt_u32 s[54:55], v0, s[sgprSizeI]            // coord0 < size0
v_cmp_lt_u32 s[58:59], v1, s[sgprSizeJ]            // coord1 < size1
s_and_b64 s[58:59], s[54:55], s[58:59]             // in0 && in1
_v_add_lshl_u32 v120, v3, v0, 0x1                  // scaleToBpe: accumulate d0 lower and *= bpe into Cin addr
v_cndmask_b32 v120, -1, v120, s[58:59]             // LDD clip if OOB. offset
/* (d1,vc1,d0,vc0)=(5,3,0,0) */
_v_add_co_u32 v1, vcc, v1, 1                       // coord1.1: coord1Vgpr += d1*sg1*VW + vc1

/* Fix for UseInitialStridesCD, emitAddressSetupCode */
_v_add_u32 v2, v2, s[sgprStrideC1J]                // ROWINC- Move cinRowPtr to next row
_v_add_u32 v3, v3, s[sgprStrideD1J]                // Move coutRowPtr to next row
v_cmp_lt_u32 s[54:55], v0, s[sgprSizeI]            // coord0 < size0
v_cmp_lt_u32 s[58:59], v1, s[sgprSizeJ]            // coord1 < size1
s_and_b64 s[58:59], s[54:55], s[58:59]             // in0 && in1
_v_add_lshl_u32 v121, v3, v0, 0x1                  // scaleToBpe: accumulate d0 lower and *= bpe into Cin addr
v_cndmask_b32 v121, -1, v121, s[58:59]             // LDD clip if OOB. offset
/* (d1,vc1,d0,vc0)=(6,0,0,0) */
_v_add_co_u32 v1, vcc, v1, 13                      // coord1.1: coord1Vgpr += d1*sg1*VW + vc1

/* Fix for UseInitialStridesCD, emitAddressSetupCode */
s_mul_i32 s54, s[sgprStrideC1J], 13                // scale stride
_v_add_u32 v2, v2, s54                             // ROWINC- Move cinRowPtr to next row
s_mul_i32 s54, s[sgprStrideD1J], 13                // scale stride
_v_add_u32 v3, v3, s54                             // Move coutRowPtr to next row
v_cmp_lt_u32 s[54:55], v0, s[sgprSizeI]            // coord0 < size0
v_cmp_lt_u32 s[58:59], v1, s[sgprSizeJ]            // coord1 < size1
s_and_b64 s[58:59], s[54:55], s[58:59]             // in0 && in1
_v_add_lshl_u32 v122, v3, v0, 0x1                  // scaleToBpe: accumulate d0 lower and *= bpe into Cin addr
v_cndmask_b32 v122, -1, v122, s[58:59]             // LDD clip if OOB. offset
/* (d1,vc1,d0,vc0)=(6,1,0,0) */
_v_add_co_u32 v1, vcc, v1, 1                       // coord1.1: coord1Vgpr += d1*sg1*VW + vc1

/* Fix for UseInitialStridesCD, emitAddressSetupCode */
_v_add_u32 v2, v2, s[sgprStrideC1J]                // ROWINC- Move cinRowPtr to next row
_v_add_u32 v3, v3, s[sgprStrideD1J]                // Move coutRowPtr to next row
v_cmp_lt_u32 s[54:55], v0, s[sgprSizeI]            // coord0 < size0
v_cmp_lt_u32 s[58:59], v1, s[sgprSizeJ]            // coord1 < size1
s_and_b64 s[58:59], s[54:55], s[58:59]             // in0 && in1
_v_add_lshl_u32 v123, v3, v0, 0x1                  // scaleToBpe: accumulate d0 lower and *= bpe into Cin addr
v_cndmask_b32 v123, -1, v123, s[58:59]             // LDD clip if OOB. offset
	;; [unrolled: 46-line block ×7, first 2 shown]
v_accvgpr_read_b32 v[vgprValuC+12], acc0 // copy acc to vreg[0]
v_accvgpr_read_b32 v[vgprValuC+13], acc4 // copy acc to vreg[1]
v_accvgpr_read_b32 v[vgprValuC+14], acc8 // copy acc to vreg[2]
v_accvgpr_read_b32 v[vgprValuC+15], acc12 // copy acc to vreg[3]
v_accvgpr_read_b32 v[vgprValuC+16], acc1 // copy acc to vreg[4]
v_accvgpr_read_b32 v[vgprValuC+17], acc5 // copy acc to vreg[5]
v_accvgpr_read_b32 v[vgprValuC+18], acc9 // copy acc to vreg[6]
v_accvgpr_read_b32 v[vgprValuC+19], acc13 // copy acc to vreg[7]
v_accvgpr_read_b32 v[vgprValuC+24], acc2 // copy acc to vreg[8]
v_accvgpr_read_b32 v[vgprValuC+25], acc6 // copy acc to vreg[9]
v_accvgpr_read_b32 v[vgprValuC+26], acc10 // copy acc to vreg[10]
v_accvgpr_read_b32 v[vgprValuC+27], acc14 // copy acc to vreg[11]
v_accvgpr_read_b32 v[vgprValuC+28], acc3 // copy acc to vreg[12]
v_accvgpr_read_b32 v[vgprValuC+29], acc7 // copy acc to vreg[13]
v_accvgpr_read_b32 v[vgprValuC+30], acc11 // copy acc to vreg[14]
v_accvgpr_read_b32 v[vgprValuC+31], acc15 // copy acc to vreg[15]
v_accvgpr_read_b32 v[vgprValuC+32], acc16 // copy acc to vreg[16]
v_accvgpr_read_b32 v[vgprValuC+33], acc20 // copy acc to vreg[17]
v_accvgpr_read_b32 v[vgprValuC+34], acc24 // copy acc to vreg[18]
v_accvgpr_read_b32 v[vgprValuC+35], acc28 // copy acc to vreg[19]
v_accvgpr_read_b32 v[vgprValuC+36], acc17 // copy acc to vreg[20]
v_accvgpr_read_b32 v[vgprValuC+37], acc21 // copy acc to vreg[21]
v_accvgpr_read_b32 v[vgprValuC+38], acc25 // copy acc to vreg[22]
v_accvgpr_read_b32 v[vgprValuC+39], acc29 // copy acc to vreg[23]
v_accvgpr_read_b32 v[vgprValuC+44], acc18 // copy acc to vreg[24]
v_accvgpr_read_b32 v[vgprValuC+45], acc22 // copy acc to vreg[25]
v_accvgpr_read_b32 v[vgprValuC+46], acc26 // copy acc to vreg[26]
v_accvgpr_read_b32 v[vgprValuC+47], acc30 // copy acc to vreg[27]
v_accvgpr_read_b32 v[vgprValuC+48], acc19 // copy acc to vreg[28]
v_accvgpr_read_b32 v[vgprValuC+49], acc23 // copy acc to vreg[29]
v_accvgpr_read_b32 v[vgprValuC+50], acc27 // copy acc to vreg[30]
v_accvgpr_read_b32 v[vgprValuC+51], acc31 // copy acc to vreg[31]
v_accvgpr_read_b32 v[vgprValuC+52], acc32 // copy acc to vreg[32]
v_accvgpr_read_b32 v[vgprValuC+53], acc36 // copy acc to vreg[33]
v_accvgpr_read_b32 v[vgprValuC+54], acc40 // copy acc to vreg[34]
v_accvgpr_read_b32 v[vgprValuC+55], acc44 // copy acc to vreg[35]
v_accvgpr_read_b32 v[vgprValuC+56], acc33 // copy acc to vreg[36]
v_accvgpr_read_b32 v[vgprValuC+57], acc37 // copy acc to vreg[37]
v_accvgpr_read_b32 v[vgprValuC+58], acc41 // copy acc to vreg[38]
v_accvgpr_read_b32 v[vgprValuC+59], acc45 // copy acc to vreg[39]
v_accvgpr_read_b32 v[vgprValuC+64], acc34 // copy acc to vreg[40]
v_accvgpr_read_b32 v[vgprValuC+65], acc38 // copy acc to vreg[41]
v_accvgpr_read_b32 v[vgprValuC+66], acc42 // copy acc to vreg[42]
v_accvgpr_read_b32 v[vgprValuC+67], acc46 // copy acc to vreg[43]
v_accvgpr_read_b32 v[vgprValuC+68], acc35 // copy acc to vreg[44]
v_accvgpr_read_b32 v[vgprValuC+69], acc39 // copy acc to vreg[45]
v_accvgpr_read_b32 v[vgprValuC+70], acc43 // copy acc to vreg[46]
v_accvgpr_read_b32 v[vgprValuC+71], acc47 // copy acc to vreg[47]
v_accvgpr_read_b32 v[vgprValuC+72], acc48 // copy acc to vreg[48]
v_accvgpr_read_b32 v[vgprValuC+73], acc52 // copy acc to vreg[49]
v_accvgpr_read_b32 v[vgprValuC+74], acc56 // copy acc to vreg[50]
v_accvgpr_read_b32 v[vgprValuC+75], acc60 // copy acc to vreg[51]
v_accvgpr_read_b32 v[vgprValuC+76], acc49 // copy acc to vreg[52]
v_accvgpr_read_b32 v[vgprValuC+77], acc53 // copy acc to vreg[53]
v_accvgpr_read_b32 v[vgprValuC+78], acc57 // copy acc to vreg[54]
v_accvgpr_read_b32 v[vgprValuC+79], acc61 // copy acc to vreg[55]
v_accvgpr_read_b32 v[vgprValuC+84], acc50 // copy acc to vreg[56]
v_accvgpr_read_b32 v[vgprValuC+85], acc54 // copy acc to vreg[57]
v_accvgpr_read_b32 v[vgprValuC+86], acc58 // copy acc to vreg[58]
v_accvgpr_read_b32 v[vgprValuC+87], acc62 // copy acc to vreg[59]
v_accvgpr_read_b32 v[vgprValuC+88], acc51 // copy acc to vreg[60]
v_accvgpr_read_b32 v[vgprValuC+89], acc55 // copy acc to vreg[61]
v_accvgpr_read_b32 v[vgprValuC+90], acc59 // copy acc to vreg[62]
v_accvgpr_read_b32 v[vgprValuC+91], acc63 // copy acc to vreg[63]
v_accvgpr_read_b32 v[vgprValuC+92], acc64 // copy acc to vreg[64]
v_accvgpr_read_b32 v[vgprValuC+93], acc68 // copy acc to vreg[65]
v_accvgpr_read_b32 v[vgprValuC+94], acc72 // copy acc to vreg[66]
v_accvgpr_read_b32 v[vgprValuC+95], acc76 // copy acc to vreg[67]
v_accvgpr_read_b32 v[vgprValuC+96], acc65 // copy acc to vreg[68]
v_accvgpr_read_b32 v[vgprValuC+97], acc69 // copy acc to vreg[69]
v_accvgpr_read_b32 v[vgprValuC+98], acc73 // copy acc to vreg[70]
v_accvgpr_read_b32 v[vgprValuC+99], acc77 // copy acc to vreg[71]
v_accvgpr_read_b32 v[vgprValuC+104], acc66 // copy acc to vreg[72]
v_accvgpr_read_b32 v[vgprValuC+105], acc70 // copy acc to vreg[73]
v_accvgpr_read_b32 v[vgprValuC+106], acc74 // copy acc to vreg[74]
v_accvgpr_read_b32 v[vgprValuC+107], acc78 // copy acc to vreg[75]
v_accvgpr_read_b32 v[vgprValuC+108], acc67 // copy acc to vreg[76]
v_accvgpr_read_b32 v[vgprValuC+109], acc71 // copy acc to vreg[77]
v_accvgpr_read_b32 v[vgprValuC+110], acc75 // copy acc to vreg[78]
v_accvgpr_read_b32 v[vgprValuC+111], acc79 // copy acc to vreg[79]
v_accvgpr_read_b32 v[vgprValuC+112], acc80 // copy acc to vreg[80]
v_accvgpr_read_b32 v[vgprValuC+113], acc84 // copy acc to vreg[81]
v_accvgpr_read_b32 v[vgprValuC+114], acc88 // copy acc to vreg[82]
v_accvgpr_read_b32 v[vgprValuC+115], acc92 // copy acc to vreg[83]
v_accvgpr_read_b32 v[vgprValuC+116], acc81 // copy acc to vreg[84]
v_accvgpr_read_b32 v[vgprValuC+117], acc85 // copy acc to vreg[85]
v_accvgpr_read_b32 v[vgprValuC+118], acc89 // copy acc to vreg[86]
v_accvgpr_read_b32 v[vgprValuC+119], acc93 // copy acc to vreg[87]
v_accvgpr_read_b32 v[vgprValuC+124], acc82 // copy acc to vreg[88]
v_accvgpr_read_b32 v[vgprValuC+125], acc86 // copy acc to vreg[89]
v_accvgpr_read_b32 v[vgprValuC+126], acc90 // copy acc to vreg[90]
v_accvgpr_read_b32 v[vgprValuC+127], acc94 // copy acc to vreg[91]
v_accvgpr_read_b32 v[vgprValuC+128], acc83 // copy acc to vreg[92]
v_accvgpr_read_b32 v[vgprValuC+129], acc87 // copy acc to vreg[93]
v_accvgpr_read_b32 v[vgprValuC+130], acc91 // copy acc to vreg[94]
v_accvgpr_read_b32 v[vgprValuC+131], acc95 // copy acc to vreg[95]
v_accvgpr_read_b32 v[vgprValuC+132], acc96 // copy acc to vreg[96]
v_accvgpr_read_b32 v[vgprValuC+133], acc100 // copy acc to vreg[97]
v_accvgpr_read_b32 v[vgprValuC+134], acc104 // copy acc to vreg[98]
v_accvgpr_read_b32 v[vgprValuC+135], acc108 // copy acc to vreg[99]
v_accvgpr_read_b32 v[vgprValuC+136], acc97 // copy acc to vreg[100]
v_accvgpr_read_b32 v[vgprValuC+137], acc101 // copy acc to vreg[101]
v_accvgpr_read_b32 v[vgprValuC+138], acc105 // copy acc to vreg[102]
v_accvgpr_read_b32 v[vgprValuC+139], acc109 // copy acc to vreg[103]
v_accvgpr_read_b32 v[vgprValuC+144], acc98 // copy acc to vreg[104]
v_accvgpr_read_b32 v[vgprValuC+145], acc102 // copy acc to vreg[105]
v_accvgpr_read_b32 v[vgprValuC+146], acc106 // copy acc to vreg[106]
v_accvgpr_read_b32 v[vgprValuC+147], acc110 // copy acc to vreg[107]
v_accvgpr_read_b32 v[vgprValuC+148], acc99 // copy acc to vreg[108]
v_accvgpr_read_b32 v[vgprValuC+149], acc103 // copy acc to vreg[109]
v_accvgpr_read_b32 v[vgprValuC+150], acc107 // copy acc to vreg[110]
v_accvgpr_read_b32 v[vgprValuC+151], acc111 // copy acc to vreg[111]
v_accvgpr_read_b32 v[vgprValuC+152], acc112 // copy acc to vreg[112]
v_accvgpr_read_b32 v[vgprValuC+153], acc116 // copy acc to vreg[113]
v_accvgpr_read_b32 v[vgprValuC+154], acc120 // copy acc to vreg[114]
v_accvgpr_read_b32 v[vgprValuC+155], acc124 // copy acc to vreg[115]
v_accvgpr_read_b32 v[vgprValuC+156], acc113 // copy acc to vreg[116]
v_accvgpr_read_b32 v[vgprValuC+157], acc117 // copy acc to vreg[117]
v_accvgpr_read_b32 v[vgprValuC+158], acc121 // copy acc to vreg[118]
v_accvgpr_read_b32 v[vgprValuC+159], acc125 // copy acc to vreg[119]
v_accvgpr_read_b32 v[vgprValuC+164], acc114 // copy acc to vreg[120]
v_accvgpr_read_b32 v[vgprValuC+165], acc118 // copy acc to vreg[121]
v_accvgpr_read_b32 v[vgprValuC+166], acc122 // copy acc to vreg[122]
v_accvgpr_read_b32 v[vgprValuC+167], acc126 // copy acc to vreg[123]
v_accvgpr_read_b32 v[vgprValuC+168], acc115 // copy acc to vreg[124]
v_accvgpr_read_b32 v[vgprValuC+169], acc119 // copy acc to vreg[125]
v_accvgpr_read_b32 v[vgprValuC+170], acc123 // copy acc to vreg[126]
v_accvgpr_read_b32 v[vgprValuC+171], acc127 // copy acc to vreg[127]
v_accvgpr_read_b32 v[vgprValuC+172], acc128 // copy acc to vreg[128]
v_accvgpr_read_b32 v[vgprValuC+173], acc132 // copy acc to vreg[129]
v_accvgpr_read_b32 v[vgprValuC+174], acc136 // copy acc to vreg[130]
v_accvgpr_read_b32 v[vgprValuC+175], acc140 // copy acc to vreg[131]
v_accvgpr_read_b32 v[vgprValuC+176], acc129 // copy acc to vreg[132]
v_accvgpr_read_b32 v[vgprValuC+177], acc133 // copy acc to vreg[133]
v_accvgpr_read_b32 v[vgprValuC+178], acc137 // copy acc to vreg[134]
v_accvgpr_read_b32 v[vgprValuC+179], acc141 // copy acc to vreg[135]
v_accvgpr_read_b32 v[vgprValuC+184], acc130 // copy acc to vreg[136]
v_accvgpr_read_b32 v[vgprValuC+185], acc134 // copy acc to vreg[137]
v_accvgpr_read_b32 v[vgprValuC+186], acc138 // copy acc to vreg[138]
v_accvgpr_read_b32 v[vgprValuC+187], acc142 // copy acc to vreg[139]
v_accvgpr_read_b32 v[vgprValuC+188], acc131 // copy acc to vreg[140]
v_accvgpr_read_b32 v[vgprValuC+189], acc135 // copy acc to vreg[141]
v_accvgpr_read_b32 v[vgprValuC+190], acc139 // copy acc to vreg[142]
v_accvgpr_read_b32 v[vgprValuC+191], acc143 // copy acc to vreg[143]
v_accvgpr_read_b32 v[vgprValuC+192], acc144 // copy acc to vreg[144]
v_accvgpr_read_b32 v[vgprValuC+193], acc148 // copy acc to vreg[145]
v_accvgpr_read_b32 v[vgprValuC+194], acc152 // copy acc to vreg[146]
v_accvgpr_read_b32 v[vgprValuC+195], acc156 // copy acc to vreg[147]
v_accvgpr_read_b32 v[vgprValuC+196], acc145 // copy acc to vreg[148]
v_accvgpr_read_b32 v[vgprValuC+197], acc149 // copy acc to vreg[149]
v_accvgpr_read_b32 v[vgprValuC+198], acc153 // copy acc to vreg[150]
v_accvgpr_read_b32 v[vgprValuC+199], acc157 // copy acc to vreg[151]
v_accvgpr_read_b32 v[vgprValuC+204], acc146 // copy acc to vreg[152]
v_accvgpr_read_b32 v[vgprValuC+205], acc150 // copy acc to vreg[153]
v_accvgpr_read_b32 v[vgprValuC+206], acc154 // copy acc to vreg[154]
v_accvgpr_read_b32 v[vgprValuC+207], acc158 // copy acc to vreg[155]
v_accvgpr_read_b32 v[vgprValuC+208], acc147 // copy acc to vreg[156]
v_accvgpr_read_b32 v[vgprValuC+209], acc151 // copy acc to vreg[157]
v_accvgpr_read_b32 v[vgprValuC+210], acc155 // copy acc to vreg[158]
v_accvgpr_read_b32 v[vgprValuC+211], acc159 // copy acc to vreg[159]
v_accvgpr_read_b32 v[vgprValuC+212], acc160 // copy acc to vreg[160]
v_accvgpr_read_b32 v[vgprValuC+213], acc164 // copy acc to vreg[161]
v_accvgpr_read_b32 v[vgprValuC+214], acc168 // copy acc to vreg[162]
v_accvgpr_read_b32 v[vgprValuC+215], acc172 // copy acc to vreg[163]
v_accvgpr_read_b32 v[vgprValuC+216], acc161 // copy acc to vreg[164]
v_accvgpr_read_b32 v[vgprValuC+217], acc165 // copy acc to vreg[165]
v_accvgpr_read_b32 v[vgprValuC+218], acc169 // copy acc to vreg[166]
v_accvgpr_read_b32 v[vgprValuC+219], acc173 // copy acc to vreg[167]
v_accvgpr_read_b32 v[vgprValuC+224], acc162 // copy acc to vreg[168]
v_accvgpr_read_b32 v[vgprValuC+225], acc166 // copy acc to vreg[169]
v_accvgpr_read_b32 v[vgprValuC+226], acc170 // copy acc to vreg[170]
v_accvgpr_read_b32 v[vgprValuC+227], acc174 // copy acc to vreg[171]
v_accvgpr_read_b32 v[vgprValuC+228], acc163 // copy acc to vreg[172]
v_accvgpr_read_b32 v[vgprValuC+229], acc167 // copy acc to vreg[173]
v_accvgpr_read_b32 v[vgprValuC+230], acc171 // copy acc to vreg[174]
v_accvgpr_read_b32 v[vgprValuC+231], acc175 // copy acc to vreg[175]
v_accvgpr_read_b32 v[vgprValuC+232], acc176 // copy acc to vreg[176]
v_accvgpr_read_b32 v[vgprValuC+233], acc180 // copy acc to vreg[177]
v_accvgpr_read_b32 v[vgprValuC+234], acc184 // copy acc to vreg[178]
v_accvgpr_read_b32 v[vgprValuC+235], acc188 // copy acc to vreg[179]
v_accvgpr_read_b32 v[vgprValuC+236], acc177 // copy acc to vreg[180]
v_accvgpr_read_b32 v[vgprValuC+237], acc181 // copy acc to vreg[181]
v_accvgpr_read_b32 v[vgprValuC+238], acc185 // copy acc to vreg[182]
v_accvgpr_read_b32 v[vgprValuC+239], acc189 // copy acc to vreg[183]
s_nop 1                                            // 2 wait states required before reading vgpr

/* rC *= alpha batchElements=[(0, 0, 0, 0), (0, 0, 1, 0), (0, 0, 2, 0), (0, 0, 3, 0), (1, 0, 0, 0), (1, 0, 1, 0), (1, 0, 2, 0), (1, 0, 3, 0), (2, 0, 0, 0), (2, 0, 1, 0), (2, 0, 2, 0), (2, 0, 3, 0), (3, 0, 0, 0), (3, 0, 1, 0), (3, 0, 2, 0), (3, 0, 3, 0), (4, 0, 0, 0), (4, 0, 1, 0), (4, 0, 2, 0), (4, 0, 3, 0), (5, 0, 0, 0), (5, 0, 1, 0), (5, 0, 2, 0), (5, 0, 3, 0), (6, 0, 0, 0), (6, 0, 1, 0), (6, 0, 2, 0), (6, 0, 3, 0), (7, 0, 0, 0), (7, 0, 1, 0), (7, 0, 2, 0), (7, 0, 3, 0), (8, 0, 0, 0), (8, 0, 1, 0), (8, 0, 2, 0), (8, 0, 3, 0), (9, 0, 0, 0), (9, 0, 1, 0), (9, 0, 2, 0), (9, 0, 3, 0), (10, 0, 0, 0), (10, 0, 1, 0), (10, 0, 2, 0), (10, 0, 3, 0), (11, 0, 0, 0), (11, 0, 1, 0)] */
v_mul_f32 v[vgprValuC+12], s[sgprAlpha], v[vgprValuC+12] // *= alpha
v_mul_f32 v[vgprValuC+13], s[sgprAlpha], v[vgprValuC+13] // *= alpha
	;; [unrolled: 1-line block ×184, first 2 shown]

/* apply mask, calc new C and issue writes */
v_mov_b32 v7, 0xffff0000                           // mask for pack two bfloat16 element to 32bit
v_mov_b32 v8, 0x7fff0000                           // fp32 Nan
v_mov_b32 v9, 0x7fff                               // rounding bias for bfloat16
v_cmp_u_f32 s[54:55], v[vgprValuC+12], v[vgprValuC+12] // check Nan
v_bfe_u32 v6, v[vgprValuC+12], 16, 1               // Non-Nan case: store lsb of bf16
v_add3_u32 v6, v[vgprValuC+12], v6, v9             // Non-Nan case: add lsb and the increment for rounding
v_cndmask_b32 v[vgprValuC+12], v6, v8, s[54:55]    // 
v_lshrrev_b32 v[vgprValuC+12], 16, v[vgprValuC+12] // convert C to bf16
v_cmp_u_f32 s[54:55], v[vgprValuC+13], v[vgprValuC+13] // check Nan
v_bfe_u32 v6, v[vgprValuC+13], 16, 1               // Non-Nan case: store lsb of bf16
v_add3_u32 v6, v[vgprValuC+13], v6, v9             // Non-Nan case: add lsb and the increment for rounding
v_cndmask_b32 v[vgprValuC+13], v6, v8, s[54:55]    // 
v_and_or_b32 v12, v[vgprValuC+13], v7, v[vgprValuC+12] // pack two bf16 to dword
v_cmp_u_f32 s[54:55], v[vgprValuC+14], v[vgprValuC+14] // check Nan
v_bfe_u32 v6, v[vgprValuC+14], 16, 1               // Non-Nan case: store lsb of bf16
v_add3_u32 v6, v[vgprValuC+14], v6, v9             // Non-Nan case: add lsb and the increment for rounding
v_cndmask_b32 v[vgprValuC+14], v6, v8, s[54:55]    // 
v_lshrrev_b32 v[vgprValuC+14], 16, v[vgprValuC+14] // convert C to bf16
v_cmp_u_f32 s[54:55], v[vgprValuC+15], v[vgprValuC+15] // check Nan
v_bfe_u32 v6, v[vgprValuC+15], 16, 1               // Non-Nan case: store lsb of bf16
v_add3_u32 v6, v[vgprValuC+15], v6, v9             // Non-Nan case: add lsb and the increment for rounding
v_cndmask_b32 v[vgprValuC+15], v6, v8, s[54:55]    // 
v_and_or_b32 v13, v[vgprValuC+15], v7, v[vgprValuC+14] // pack two bf16 to dword
_buffer_store_b64 v[12:13], v10, s[sgprSrdD:sgprSrdD+3], 0, offen, offset:0,  sc0 sc1 // store D
v_cmp_u_f32 s[54:55], v[vgprValuC+16], v[vgprValuC+16] // check Nan
v_bfe_u32 v6, v[vgprValuC+16], 16, 1               // Non-Nan case: store lsb of bf16
v_add3_u32 v6, v[vgprValuC+16], v6, v9             // Non-Nan case: add lsb and the increment for rounding
v_cndmask_b32 v[vgprValuC+16], v6, v8, s[54:55]    // 
v_lshrrev_b32 v[vgprValuC+16], 16, v[vgprValuC+16] // convert C to bf16
v_cmp_u_f32 s[54:55], v[vgprValuC+17], v[vgprValuC+17] // check Nan
v_bfe_u32 v6, v[vgprValuC+17], 16, 1               // Non-Nan case: store lsb of bf16
v_add3_u32 v6, v[vgprValuC+17], v6, v9             // Non-Nan case: add lsb and the increment for rounding
v_cndmask_b32 v[vgprValuC+17], v6, v8, s[54:55]    // 
v_and_or_b32 v16, v[vgprValuC+17], v7, v[vgprValuC+16] // pack two bf16 to dword
v_cmp_u_f32 s[54:55], v[vgprValuC+18], v[vgprValuC+18] // check Nan
v_bfe_u32 v6, v[vgprValuC+18], 16, 1               // Non-Nan case: store lsb of bf16
v_add3_u32 v6, v[vgprValuC+18], v6, v9             // Non-Nan case: add lsb and the increment for rounding
v_cndmask_b32 v[vgprValuC+18], v6, v8, s[54:55]    // 
v_lshrrev_b32 v[vgprValuC+18], 16, v[vgprValuC+18] // convert C to bf16
v_cmp_u_f32 s[54:55], v[vgprValuC+19], v[vgprValuC+19] // check Nan
v_bfe_u32 v6, v[vgprValuC+19], 16, 1               // Non-Nan case: store lsb of bf16
v_add3_u32 v6, v[vgprValuC+19], v6, v9             // Non-Nan case: add lsb and the increment for rounding
v_cndmask_b32 v[vgprValuC+19], v6, v8, s[54:55]    // 
v_and_or_b32 v17, v[vgprValuC+19], v7, v[vgprValuC+18] // pack two bf16 to dword
_buffer_store_b64 v[16:17], v11, s[sgprSrdD:sgprSrdD+3], 0, offen, offset:0,  sc0 sc1 // store D
	;; [unrolled: 21-line block ×18, first 2 shown]
v_cmp_u_f32 s[54:55], v[vgprValuC+104], v[vgprValuC+104] // check Nan
v_bfe_u32 v6, v[vgprValuC+104], 16, 1              // Non-Nan case: store lsb of bf16
v_add3_u32 v6, v[vgprValuC+104], v6, v9            // Non-Nan case: add lsb and the increment for rounding
v_cndmask_b32 v[vgprValuC+104], v6, v8, s[54:55]   // 
v_lshrrev_b32 v[vgprValuC+104], 16, v[vgprValuC+104] // convert C to bf16
v_cmp_u_f32 s[54:55], v[vgprValuC+105], v[vgprValuC+105] // check Nan
v_bfe_u32 v6, v[vgprValuC+105], 16, 1              // Non-Nan case: store lsb of bf16
v_add3_u32 v6, v[vgprValuC+105], v6, v9            // Non-Nan case: add lsb and the increment for rounding
v_cndmask_b32 v[vgprValuC+105], v6, v8, s[54:55]   // 
v_and_or_b32 v104, v[vgprValuC+105], v7, v[vgprValuC+104] // pack two bf16 to dword
v_cmp_u_f32 s[54:55], v[vgprValuC+106], v[vgprValuC+106] // check Nan
v_bfe_u32 v6, v[vgprValuC+106], 16, 1              // Non-Nan case: store lsb of bf16
v_add3_u32 v6, v[vgprValuC+106], v6, v9            // Non-Nan case: add lsb and the increment for rounding
v_cndmask_b32 v[vgprValuC+106], v6, v8, s[54:55]   // 
v_lshrrev_b32 v[vgprValuC+106], 16, v[vgprValuC+106] // convert C to bf16
v_cmp_u_f32 s[54:55], v[vgprValuC+107], v[vgprValuC+107] // check Nan
v_bfe_u32 v6, v[vgprValuC+107], 16, 1              // Non-Nan case: store lsb of bf16
v_add3_u32 v6, v[vgprValuC+107], v6, v9            // Non-Nan case: add lsb and the increment for rounding
v_cndmask_b32 v[vgprValuC+107], v6, v8, s[54:55]   // 
v_and_or_b32 v105, v[vgprValuC+107], v7, v[vgprValuC+106] // pack two bf16 to dword
_buffer_store_b64 v[104:105], v100, s[sgprSrdD:sgprSrdD+3], 0, offen, offset:0,  sc0 sc1 // store D
v_cmp_u_f32 s[54:55], v[vgprValuC+108], v[vgprValuC+108] // check Nan
v_bfe_u32 v6, v[vgprValuC+108], 16, 1              // Non-Nan case: store lsb of bf16
v_add3_u32 v6, v[vgprValuC+108], v6, v9            // Non-Nan case: add lsb and the increment for rounding
v_cndmask_b32 v[vgprValuC+108], v6, v8, s[54:55]   // 
v_lshrrev_b32 v[vgprValuC+108], 16, v[vgprValuC+108] // convert C to bf16
v_cmp_u_f32 s[54:55], v[vgprValuC+109], v[vgprValuC+109] // check Nan
v_bfe_u32 v6, v[vgprValuC+109], 16, 1              // Non-Nan case: store lsb of bf16
v_add3_u32 v6, v[vgprValuC+109], v6, v9            // Non-Nan case: add lsb and the increment for rounding
v_cndmask_b32 v[vgprValuC+109], v6, v8, s[54:55]   // 
v_and_or_b32 v108, v[vgprValuC+109], v7, v[vgprValuC+108] // pack two bf16 to dword
v_cmp_u_f32 s[54:55], v[vgprValuC+110], v[vgprValuC+110] // check Nan
v_bfe_u32 v6, v[vgprValuC+110], 16, 1              // Non-Nan case: store lsb of bf16
v_add3_u32 v6, v[vgprValuC+110], v6, v9            // Non-Nan case: add lsb and the increment for rounding
v_cndmask_b32 v[vgprValuC+110], v6, v8, s[54:55]   // 
v_lshrrev_b32 v[vgprValuC+110], 16, v[vgprValuC+110] // convert C to bf16
v_cmp_u_f32 s[54:55], v[vgprValuC+111], v[vgprValuC+111] // check Nan
v_bfe_u32 v6, v[vgprValuC+111], 16, 1              // Non-Nan case: store lsb of bf16
v_add3_u32 v6, v[vgprValuC+111], v6, v9            // Non-Nan case: add lsb and the increment for rounding
v_cndmask_b32 v[vgprValuC+111], v6, v8, s[54:55]   // 
v_and_or_b32 v109, v[vgprValuC+111], v7, v[vgprValuC+110] // pack two bf16 to dword
_buffer_store_b64 v[108:109], v101, s[sgprSrdD:sgprSrdD+3], 0, offen, offset:0,  sc0 sc1 // store D
	;; [unrolled: 21-line block ×28, first 2 shown]
s_nop 0                                            // 1 wait state required when next inst writes vgprs held by previous dwordx4 store inst
/* optSingleColVgpr=0 optSharedColVgpr=0 optSGPRUsage=BufferLoad_Edge_Mask optSrdIncForRow=0 */

/******************************************/
/* Global Write Alpha Edge Batch #1 (d1,d0,vc1,vc0) = */
/*    (11,0,2,0:vw4); (11,0,3,0:vw4); (12,0,0,0:vw4); (12,0,1,0:vw4); (12,0,2,0:vw4); (12,0,3,0:vw4); (13,0,0,0:vw4); (13,0,1,0:vw4); (13,0,2,0:vw4); (13,0,3,0:vw4) */
/******************************************/

/* calc coords, apply mask, and issue loads (if necessary) */
/* (d1,vc1,d0,vc0)=(11,2,0,0) */
_v_add_co_u32 v1, vcc, v1, 1                       // coord1.1: coord1Vgpr += d1*sg1*VW + vc1

/* Fix for UseInitialStridesCD, emitAddressSetupCode */
_v_add_u32 v2, v2, s[sgprStrideC1J]                // ROWINC- Move cinRowPtr to next row
_v_add_u32 v3, v3, s[sgprStrideD1J]                // Move coutRowPtr to next row
v_cmp_lt_u32 s[54:55], v0, s[sgprSizeI]            // coord0 < size0
v_cmp_lt_u32 s[58:59], v1, s[sgprSizeJ]            // coord1 < size1
s_and_b64 s[58:59], s[54:55], s[58:59]             // in0 && in1
_v_add_lshl_u32 v10, v3, v0, 0x1                   // scaleToBpe: accumulate d0 lower and *= bpe into Cin addr
v_cndmask_b32 v10, -1, v10, s[58:59]               // LDD clip if OOB. offset
/* (d1,vc1,d0,vc0)=(11,3,0,0) */
_v_add_co_u32 v1, vcc, v1, 1                       // coord1.1: coord1Vgpr += d1*sg1*VW + vc1

/* Fix for UseInitialStridesCD, emitAddressSetupCode */
_v_add_u32 v2, v2, s[sgprStrideC1J]                // ROWINC- Move cinRowPtr to next row
_v_add_u32 v3, v3, s[sgprStrideD1J]                // Move coutRowPtr to next row
v_cmp_lt_u32 s[54:55], v0, s[sgprSizeI]            // coord0 < size0
v_cmp_lt_u32 s[58:59], v1, s[sgprSizeJ]            // coord1 < size1
s_and_b64 s[58:59], s[54:55], s[58:59]             // in0 && in1
_v_add_lshl_u32 v11, v3, v0, 0x1                   // scaleToBpe: accumulate d0 lower and *= bpe into Cin addr
v_cndmask_b32 v11, -1, v11, s[58:59]               // LDD clip if OOB. offset
/* (d1,vc1,d0,vc0)=(12,0,0,0) */
_v_add_co_u32 v1, vcc, v1, 13                      // coord1.1: coord1Vgpr += d1*sg1*VW + vc1

/* Fix for UseInitialStridesCD, emitAddressSetupCode */
s_mul_i32 s54, s[sgprStrideC1J], 13                // scale stride
_v_add_u32 v2, v2, s54                             // ROWINC- Move cinRowPtr to next row
s_mul_i32 s54, s[sgprStrideD1J], 13                // scale stride
_v_add_u32 v3, v3, s54                             // Move coutRowPtr to next row
v_cmp_lt_u32 s[54:55], v0, s[sgprSizeI]            // coord0 < size0
v_cmp_lt_u32 s[58:59], v1, s[sgprSizeJ]            // coord1 < size1
s_and_b64 s[58:59], s[54:55], s[58:59]             // in0 && in1
_v_add_lshl_u32 v20, v3, v0, 0x1                   // scaleToBpe: accumulate d0 lower and *= bpe into Cin addr
v_cndmask_b32 v20, -1, v20, s[58:59]               // LDD clip if OOB. offset
/* (d1,vc1,d0,vc0)=(12,1,0,0) */
_v_add_co_u32 v1, vcc, v1, 1                       // coord1.1: coord1Vgpr += d1*sg1*VW + vc1

/* Fix for UseInitialStridesCD, emitAddressSetupCode */
_v_add_u32 v2, v2, s[sgprStrideC1J]                // ROWINC- Move cinRowPtr to next row
_v_add_u32 v3, v3, s[sgprStrideD1J]                // Move coutRowPtr to next row
v_cmp_lt_u32 s[54:55], v0, s[sgprSizeI]            // coord0 < size0
v_cmp_lt_u32 s[58:59], v1, s[sgprSizeJ]            // coord1 < size1
s_and_b64 s[58:59], s[54:55], s[58:59]             // in0 && in1
_v_add_lshl_u32 v21, v3, v0, 0x1                   // scaleToBpe: accumulate d0 lower and *= bpe into Cin addr
v_cndmask_b32 v21, -1, v21, s[58:59]               // LDD clip if OOB. offset
/* (d1,vc1,d0,vc0)=(12,2,0,0) */
_v_add_co_u32 v1, vcc, v1, 1                       // coord1.1: coord1Vgpr += d1*sg1*VW + vc1

/* Fix for UseInitialStridesCD, emitAddressSetupCode */
_v_add_u32 v2, v2, s[sgprStrideC1J]                // ROWINC- Move cinRowPtr to next row
_v_add_u32 v3, v3, s[sgprStrideD1J]                // Move coutRowPtr to next row
	;; [unrolled: 11-line block ×3, first 2 shown]
v_cmp_lt_u32 s[54:55], v0, s[sgprSizeI]            // coord0 < size0
v_cmp_lt_u32 s[58:59], v1, s[sgprSizeJ]            // coord1 < size1
s_and_b64 s[58:59], s[54:55], s[58:59]             // in0 && in1
_v_add_lshl_u32 v23, v3, v0, 0x1                   // scaleToBpe: accumulate d0 lower and *= bpe into Cin addr
v_cndmask_b32 v23, -1, v23, s[58:59]               // LDD clip if OOB. offset
/* (d1,vc1,d0,vc0)=(13,0,0,0) */
_v_add_co_u32 v1, vcc, v1, 13                      // coord1.1: coord1Vgpr += d1*sg1*VW + vc1

/* Fix for UseInitialStridesCD, emitAddressSetupCode */
s_mul_i32 s54, s[sgprStrideC1J], 13                // scale stride
_v_add_u32 v2, v2, s54                             // ROWINC- Move cinRowPtr to next row
s_mul_i32 s54, s[sgprStrideD1J], 13                // scale stride
_v_add_u32 v3, v3, s54                             // Move coutRowPtr to next row
v_cmp_lt_u32 s[54:55], v0, s[sgprSizeI]            // coord0 < size0
v_cmp_lt_u32 s[58:59], v1, s[sgprSizeJ]            // coord1 < size1
s_and_b64 s[58:59], s[54:55], s[58:59]             // in0 && in1
_v_add_lshl_u32 v40, v3, v0, 0x1                   // scaleToBpe: accumulate d0 lower and *= bpe into Cin addr
v_cndmask_b32 v40, -1, v40, s[58:59]               // LDD clip if OOB. offset
/* (d1,vc1,d0,vc0)=(13,1,0,0) */
_v_add_co_u32 v1, vcc, v1, 1                       // coord1.1: coord1Vgpr += d1*sg1*VW + vc1

/* Fix for UseInitialStridesCD, emitAddressSetupCode */
_v_add_u32 v2, v2, s[sgprStrideC1J]                // ROWINC- Move cinRowPtr to next row
_v_add_u32 v3, v3, s[sgprStrideD1J]                // Move coutRowPtr to next row
v_cmp_lt_u32 s[54:55], v0, s[sgprSizeI]            // coord0 < size0
v_cmp_lt_u32 s[58:59], v1, s[sgprSizeJ]            // coord1 < size1
s_and_b64 s[58:59], s[54:55], s[58:59]             // in0 && in1
_v_add_lshl_u32 v41, v3, v0, 0x1                   // scaleToBpe: accumulate d0 lower and *= bpe into Cin addr
v_cndmask_b32 v41, -1, v41, s[58:59]               // LDD clip if OOB. offset
/* (d1,vc1,d0,vc0)=(13,2,0,0) */
_v_add_co_u32 v1, vcc, v1, 1                       // coord1.1: coord1Vgpr += d1*sg1*VW + vc1

/* Fix for UseInitialStridesCD, emitAddressSetupCode */
_v_add_u32 v2, v2, s[sgprStrideC1J]                // ROWINC- Move cinRowPtr to next row
_v_add_u32 v3, v3, s[sgprStrideD1J]                // Move coutRowPtr to next row
	;; [unrolled: 11-line block ×3, first 2 shown]
v_cmp_lt_u32 s[54:55], v0, s[sgprSizeI]            // coord0 < size0
v_cmp_lt_u32 s[58:59], v1, s[sgprSizeJ]            // coord1 < size1
s_and_b64 s[58:59], s[54:55], s[58:59]             // in0 && in1
_v_add_lshl_u32 v43, v3, v0, 0x1                   // scaleToBpe: accumulate d0 lower and *= bpe into Cin addr
v_cndmask_b32 v43, -1, v43, s[58:59]               // LDD clip if OOB. offset
v_accvgpr_read_b32 v[vgprValuC+12], acc178 // copy acc to vreg[184]
v_accvgpr_read_b32 v[vgprValuC+13], acc182 // copy acc to vreg[185]
v_accvgpr_read_b32 v[vgprValuC+14], acc186 // copy acc to vreg[186]
v_accvgpr_read_b32 v[vgprValuC+15], acc190 // copy acc to vreg[187]
v_accvgpr_read_b32 v[vgprValuC+16], acc179 // copy acc to vreg[188]
v_accvgpr_read_b32 v[vgprValuC+17], acc183 // copy acc to vreg[189]
v_accvgpr_read_b32 v[vgprValuC+18], acc187 // copy acc to vreg[190]
v_accvgpr_read_b32 v[vgprValuC+19], acc191 // copy acc to vreg[191]
v_accvgpr_read_b32 v[vgprValuC+24], acc192 // copy acc to vreg[192]
v_accvgpr_read_b32 v[vgprValuC+25], acc196 // copy acc to vreg[193]
v_accvgpr_read_b32 v[vgprValuC+26], acc200 // copy acc to vreg[194]
v_accvgpr_read_b32 v[vgprValuC+27], acc204 // copy acc to vreg[195]
v_accvgpr_read_b32 v[vgprValuC+28], acc193 // copy acc to vreg[196]
v_accvgpr_read_b32 v[vgprValuC+29], acc197 // copy acc to vreg[197]
v_accvgpr_read_b32 v[vgprValuC+30], acc201 // copy acc to vreg[198]
v_accvgpr_read_b32 v[vgprValuC+31], acc205 // copy acc to vreg[199]
v_accvgpr_read_b32 v[vgprValuC+32], acc194 // copy acc to vreg[200]
v_accvgpr_read_b32 v[vgprValuC+33], acc198 // copy acc to vreg[201]
v_accvgpr_read_b32 v[vgprValuC+34], acc202 // copy acc to vreg[202]
v_accvgpr_read_b32 v[vgprValuC+35], acc206 // copy acc to vreg[203]
v_accvgpr_read_b32 v[vgprValuC+36], acc195 // copy acc to vreg[204]
v_accvgpr_read_b32 v[vgprValuC+37], acc199 // copy acc to vreg[205]
v_accvgpr_read_b32 v[vgprValuC+38], acc203 // copy acc to vreg[206]
v_accvgpr_read_b32 v[vgprValuC+39], acc207 // copy acc to vreg[207]
v_accvgpr_read_b32 v[vgprValuC+44], acc208 // copy acc to vreg[208]
v_accvgpr_read_b32 v[vgprValuC+45], acc212 // copy acc to vreg[209]
v_accvgpr_read_b32 v[vgprValuC+46], acc216 // copy acc to vreg[210]
v_accvgpr_read_b32 v[vgprValuC+47], acc220 // copy acc to vreg[211]
v_accvgpr_read_b32 v[vgprValuC+48], acc209 // copy acc to vreg[212]
v_accvgpr_read_b32 v[vgprValuC+49], acc213 // copy acc to vreg[213]
v_accvgpr_read_b32 v[vgprValuC+50], acc217 // copy acc to vreg[214]
v_accvgpr_read_b32 v[vgprValuC+51], acc221 // copy acc to vreg[215]
v_accvgpr_read_b32 v[vgprValuC+52], acc210 // copy acc to vreg[216]
v_accvgpr_read_b32 v[vgprValuC+53], acc214 // copy acc to vreg[217]
v_accvgpr_read_b32 v[vgprValuC+54], acc218 // copy acc to vreg[218]
v_accvgpr_read_b32 v[vgprValuC+55], acc222 // copy acc to vreg[219]
v_accvgpr_read_b32 v[vgprValuC+56], acc211 // copy acc to vreg[220]
v_accvgpr_read_b32 v[vgprValuC+57], acc215 // copy acc to vreg[221]
v_accvgpr_read_b32 v[vgprValuC+58], acc219 // copy acc to vreg[222]
v_accvgpr_read_b32 v[vgprValuC+59], acc223 // copy acc to vreg[223]
s_nop 1                                            // 2 wait states required before reading vgpr

/* rC *= alpha batchElements=[(11, 0, 2, 0), (11, 0, 3, 0), (12, 0, 0, 0), (12, 0, 1, 0), (12, 0, 2, 0), (12, 0, 3, 0), (13, 0, 0, 0), (13, 0, 1, 0), (13, 0, 2, 0), (13, 0, 3, 0)] */
v_mul_f32 v[vgprValuC+12], s[sgprAlpha], v[vgprValuC+12] // *= alpha
v_mul_f32 v[vgprValuC+13], s[sgprAlpha], v[vgprValuC+13] // *= alpha
	;; [unrolled: 1-line block ×40, first 2 shown]

/* apply mask, calc new C and issue writes */
v_mov_b32 v7, 0xffff0000                           // mask for pack two bfloat16 element to 32bit
v_mov_b32 v8, 0x7fff0000                           // fp32 Nan
v_mov_b32 v9, 0x7fff                               // rounding bias for bfloat16
v_cmp_u_f32 s[54:55], v[vgprValuC+12], v[vgprValuC+12] // check Nan
v_bfe_u32 v6, v[vgprValuC+12], 16, 1               // Non-Nan case: store lsb of bf16
v_add3_u32 v6, v[vgprValuC+12], v6, v9             // Non-Nan case: add lsb and the increment for rounding
v_cndmask_b32 v[vgprValuC+12], v6, v8, s[54:55]    // 
v_lshrrev_b32 v[vgprValuC+12], 16, v[vgprValuC+12] // convert C to bf16
v_cmp_u_f32 s[54:55], v[vgprValuC+13], v[vgprValuC+13] // check Nan
v_bfe_u32 v6, v[vgprValuC+13], 16, 1               // Non-Nan case: store lsb of bf16
v_add3_u32 v6, v[vgprValuC+13], v6, v9             // Non-Nan case: add lsb and the increment for rounding
v_cndmask_b32 v[vgprValuC+13], v6, v8, s[54:55]    // 
v_and_or_b32 v12, v[vgprValuC+13], v7, v[vgprValuC+12] // pack two bf16 to dword
v_cmp_u_f32 s[54:55], v[vgprValuC+14], v[vgprValuC+14] // check Nan
v_bfe_u32 v6, v[vgprValuC+14], 16, 1               // Non-Nan case: store lsb of bf16
v_add3_u32 v6, v[vgprValuC+14], v6, v9             // Non-Nan case: add lsb and the increment for rounding
v_cndmask_b32 v[vgprValuC+14], v6, v8, s[54:55]    // 
v_lshrrev_b32 v[vgprValuC+14], 16, v[vgprValuC+14] // convert C to bf16
v_cmp_u_f32 s[54:55], v[vgprValuC+15], v[vgprValuC+15] // check Nan
v_bfe_u32 v6, v[vgprValuC+15], 16, 1               // Non-Nan case: store lsb of bf16
v_add3_u32 v6, v[vgprValuC+15], v6, v9             // Non-Nan case: add lsb and the increment for rounding
v_cndmask_b32 v[vgprValuC+15], v6, v8, s[54:55]    // 
v_and_or_b32 v13, v[vgprValuC+15], v7, v[vgprValuC+14] // pack two bf16 to dword
_buffer_store_b64 v[12:13], v10, s[sgprSrdD:sgprSrdD+3], 0, offen, offset:0,  sc0 sc1 // store D
v_cmp_u_f32 s[54:55], v[vgprValuC+16], v[vgprValuC+16] // check Nan
v_bfe_u32 v6, v[vgprValuC+16], 16, 1               // Non-Nan case: store lsb of bf16
v_add3_u32 v6, v[vgprValuC+16], v6, v9             // Non-Nan case: add lsb and the increment for rounding
v_cndmask_b32 v[vgprValuC+16], v6, v8, s[54:55]    // 
v_lshrrev_b32 v[vgprValuC+16], 16, v[vgprValuC+16] // convert C to bf16
v_cmp_u_f32 s[54:55], v[vgprValuC+17], v[vgprValuC+17] // check Nan
v_bfe_u32 v6, v[vgprValuC+17], 16, 1               // Non-Nan case: store lsb of bf16
v_add3_u32 v6, v[vgprValuC+17], v6, v9             // Non-Nan case: add lsb and the increment for rounding
v_cndmask_b32 v[vgprValuC+17], v6, v8, s[54:55]    // 
v_and_or_b32 v16, v[vgprValuC+17], v7, v[vgprValuC+16] // pack two bf16 to dword
v_cmp_u_f32 s[54:55], v[vgprValuC+18], v[vgprValuC+18] // check Nan
v_bfe_u32 v6, v[vgprValuC+18], 16, 1               // Non-Nan case: store lsb of bf16
v_add3_u32 v6, v[vgprValuC+18], v6, v9             // Non-Nan case: add lsb and the increment for rounding
v_cndmask_b32 v[vgprValuC+18], v6, v8, s[54:55]    // 
v_lshrrev_b32 v[vgprValuC+18], 16, v[vgprValuC+18] // convert C to bf16
v_cmp_u_f32 s[54:55], v[vgprValuC+19], v[vgprValuC+19] // check Nan
v_bfe_u32 v6, v[vgprValuC+19], 16, 1               // Non-Nan case: store lsb of bf16
v_add3_u32 v6, v[vgprValuC+19], v6, v9             // Non-Nan case: add lsb and the increment for rounding
v_cndmask_b32 v[vgprValuC+19], v6, v8, s[54:55]    // 
v_and_or_b32 v17, v[vgprValuC+19], v7, v[vgprValuC+18] // pack two bf16 to dword
_buffer_store_b64 v[16:17], v11, s[sgprSrdD:sgprSrdD+3], 0, offen, offset:0,  sc0 sc1 // store D
	;; [unrolled: 21-line block ×10, first 2 shown]
s_nop 0                                            // 1 wait state required when next inst writes vgprs held by previous dwordx4 store inst
s_branch label_GW_End_42                           // jump to end
GW_Beta_43:
s_and_b32 s54, 255, s[sgprSizeI]                   // s54 = s[sgprSizeI] % 256
s_add_u32 s55, -0x1, s[sgprNumWorkGroups0]         // 
s_cmp_ge_u32 s[sgprWorkGroup0], s55                // wg0 >= nwg0-1 ?
s_cselect_b32 s54, s54, 0                          // set rMT0
s_cmpk_gt_u32 s54, 0x0                             // rMT0 > 0
s_cbranch_scc1 GW_B1_E1_41                         // jump if edges required
s_mov_b32 s57, 0x0                                 // STATIC_DIV: divisior=224
s_mul_i32 s56, 0x249, s[sgprSizeJ]                 // tmp1 = dividend * magic hi
s_lshl_b64 s[56:57], s[56:57], 0x10                // left shift 16 bits
s_mul_i32 s55, s[sgprSizeJ], 0x2493                // tmp0 = dividend * magic lo
s_add_u32 s56, s55, s56                            // add lo
s_addc_u32 s57, s57, 0x0                           // add hi
s_lshr_b64 s[56:57], s[56:57], 0x21                // tmp1 = (dividend * magic) << shift
s_mov_b32 s55, s56                                 // quotient
s_mul_i32 s56, s55, 0xe0                           // quotient*divisor
s_sub_u32 s54, s[sgprSizeJ], s56                   // rReg = dividend - quotient*divisor
s_add_u32 s55, -0x1, s[sgprNumWorkGroups1]         // 
s_cmp_ge_u32 s[sgprWorkGroup1], s55                // wg1 >= nwg1-1
s_cselect_b32 s54, s54, 0                          // set rMT1
s_cmpk_gt_u32 s54, 0x0                             // rMT1 > 0
s_cbranch_scc1 GW_B1_E1_41                         // jump if edges required
GW_B1_E0_38:

/* edge=0, allocate 2 sgpr. perBatchTmpS=2 perBatchMaskS=0 perElementMaskS=0 elementsPerBatch=40 */
/* optSingleColVgpr=1 optSharedColVgpr=0 optSGPRUsage=BufferLoad_Mask optSrdIncForRow=1 */

/******************************************/
/* Global Write Alpha Beta Batch #0 (d1,d0,vc1,vc0) = */
/*    (0,0,0,0:vw4); (0,0,1,0:vw4); (0,0,2,0:vw4); (0,0,3,0:vw4); (1,0,0,0:vw4); (1,0,1,0:vw4); (1,0,2,0:vw4); (1,0,3,0:vw4); (2,0,0,0:vw4); (2,0,1,0:vw4); (2,0,2,0:vw4); (2,0,3,0:vw4); (3,0,0,0:vw4); (3,0,1,0:vw4); (3,0,2,0:vw4); (3,0,3,0:vw4); (4,0,0,0:vw4); (4,0,1,0:vw4); (4,0,2,0:vw4); (4,0,3,0:vw4); (5,0,0,0:vw4); (5,0,1,0:vw4); (5,0,2,0:vw4); (5,0,3,0:vw4); (6,0,0,0:vw4); (6,0,1,0:vw4); (6,0,2,0:vw4); (6,0,3,0:vw4); (7,0,0,0:vw4); (7,0,1,0:vw4); (7,0,2,0:vw4); (7,0,3,0:vw4); (8,0,0,0:vw4); (8,0,1,0:vw4); (8,0,2,0:vw4); (8,0,3,0:vw4); (9,0,0,0:vw4); (9,0,1,0:vw4); (9,0,2,0:vw4); (9,0,3,0:vw4) */
/******************************************/

/* calc coords, apply mask, and issue loads (if necessary) */
/* (d1,vc1,d0,vc0)=(0,0,0,0) */
_v_add_lshl_u32 v11, v2, v0, 0x1                   // optSingleColVgpr scaleToBpe: sharedAddrVgpr <- cinRowPtr + coord0, scaled by BPE. BSHERE:coord0=0, coord0Vgpr=0
_buffer_load_b64 v[12:13], v11, s[sgprSrdC:sgprSrdC+3], 0, offen offset:0,  sc0 sc1 // load C for beta calc
/* (d1,vc1,d0,vc0)=(0,1,0,0) */
s_lshl_b32  s54, s[sgprStrideC1J], 1               // incToNextRow: Scale by BPE
s_add_u32  s[sgprSrdC+0], s[sgprSrdC+0], s54       // incToNextRow: gra SRD += inc(lower)
s_addc_u32  s[sgprSrdC+1], s[sgprSrdC+1], 0        // incToNextRow: gra SRD += inc(upper)
_buffer_load_b64 v[14:15], v11, s[sgprSrdC:sgprSrdC+3], 0, offen offset:0,  sc0 sc1 // load C for beta calc
/* (d1,vc1,d0,vc0)=(0,2,0,0) */
s_lshl_b32  s54, s[sgprStrideC1J], 1               // incToNextRow: Scale by BPE
s_add_u32  s[sgprSrdC+0], s[sgprSrdC+0], s54       // incToNextRow: gra SRD += inc(lower)
s_addc_u32  s[sgprSrdC+1], s[sgprSrdC+1], 0        // incToNextRow: gra SRD += inc(upper)
_buffer_load_b64 v[24:25], v11, s[sgprSrdC:sgprSrdC+3], 0, offen offset:0,  sc0 sc1 // load C for beta calc
/* (d1,vc1,d0,vc0)=(0,3,0,0) */
s_lshl_b32  s54, s[sgprStrideC1J], 1               // incToNextRow: Scale by BPE
s_add_u32  s[sgprSrdC+0], s[sgprSrdC+0], s54       // incToNextRow: gra SRD += inc(lower)
s_addc_u32  s[sgprSrdC+1], s[sgprSrdC+1], 0        // incToNextRow: gra SRD += inc(upper)
_buffer_load_b64 v[26:27], v11, s[sgprSrdC:sgprSrdC+3], 0, offen offset:0,  sc0 sc1 // load C for beta calc
/* (d1,vc1,d0,vc0)=(1,0,0,0) */
s_mul_i32 s54, s[sgprStrideC1J], 26                // scale StrideC *= numRows(13) * bpe
s_add_u32  s[sgprSrdC+0], s[sgprSrdC+0], s54       // incToNextRow: gra SRD += inc(lower)
s_addc_u32  s[sgprSrdC+1], s[sgprSrdC+1], 0        // incToNextRow: gra SRD += inc(upper)
_buffer_load_b64 v[36:37], v11, s[sgprSrdC:sgprSrdC+3], 0, offen offset:0,  sc0 sc1 // load C for beta calc
/* (d1,vc1,d0,vc0)=(1,1,0,0) */
s_lshl_b32  s54, s[sgprStrideC1J], 1               // incToNextRow: Scale by BPE
s_add_u32  s[sgprSrdC+0], s[sgprSrdC+0], s54       // incToNextRow: gra SRD += inc(lower)
s_addc_u32  s[sgprSrdC+1], s[sgprSrdC+1], 0        // incToNextRow: gra SRD += inc(upper)
_buffer_load_b64 v[38:39], v11, s[sgprSrdC:sgprSrdC+3], 0, offen offset:0,  sc0 sc1 // load C for beta calc
/* (d1,vc1,d0,vc0)=(1,2,0,0) */
s_lshl_b32  s54, s[sgprStrideC1J], 1               // incToNextRow: Scale by BPE
s_add_u32  s[sgprSrdC+0], s[sgprSrdC+0], s54       // incToNextRow: gra SRD += inc(lower)
s_addc_u32  s[sgprSrdC+1], s[sgprSrdC+1], 0        // incToNextRow: gra SRD += inc(upper)
_buffer_load_b64 v[48:49], v11, s[sgprSrdC:sgprSrdC+3], 0, offen offset:0,  sc0 sc1 // load C for beta calc
/* (d1,vc1,d0,vc0)=(1,3,0,0) */
s_lshl_b32  s54, s[sgprStrideC1J], 1               // incToNextRow: Scale by BPE
s_add_u32  s[sgprSrdC+0], s[sgprSrdC+0], s54       // incToNextRow: gra SRD += inc(lower)
s_addc_u32  s[sgprSrdC+1], s[sgprSrdC+1], 0        // incToNextRow: gra SRD += inc(upper)
_buffer_load_b64 v[50:51], v11, s[sgprSrdC:sgprSrdC+3], 0, offen offset:0,  sc0 sc1 // load C for beta calc
/* (d1,vc1,d0,vc0)=(2,0,0,0) */
s_mul_i32 s54, s[sgprStrideC1J], 26                // scale StrideC *= numRows(13) * bpe
s_add_u32  s[sgprSrdC+0], s[sgprSrdC+0], s54       // incToNextRow: gra SRD += inc(lower)
s_addc_u32  s[sgprSrdC+1], s[sgprSrdC+1], 0        // incToNextRow: gra SRD += inc(upper)
	;; [unrolled: 20-line block ×9, first 2 shown]
_buffer_load_b64 v[228:229], v11, s[sgprSrdC:sgprSrdC+3], 0, offen offset:0,  sc0 sc1 // load C for beta calc
/* (d1,vc1,d0,vc0)=(9,1,0,0) */
s_lshl_b32  s54, s[sgprStrideC1J], 1               // incToNextRow: Scale by BPE
s_add_u32  s[sgprSrdC+0], s[sgprSrdC+0], s54       // incToNextRow: gra SRD += inc(lower)
s_addc_u32  s[sgprSrdC+1], s[sgprSrdC+1], 0        // incToNextRow: gra SRD += inc(upper)
_buffer_load_b64 v[230:231], v11, s[sgprSrdC:sgprSrdC+3], 0, offen offset:0,  sc0 sc1 // load C for beta calc
/* (d1,vc1,d0,vc0)=(9,2,0,0) */
s_lshl_b32  s54, s[sgprStrideC1J], 1               // incToNextRow: Scale by BPE
s_add_u32  s[sgprSrdC+0], s[sgprSrdC+0], s54       // incToNextRow: gra SRD += inc(lower)
s_addc_u32  s[sgprSrdC+1], s[sgprSrdC+1], 0        // incToNextRow: gra SRD += inc(upper)
	;; [unrolled: 5-line block ×3, first 2 shown]
_buffer_load_b64 v[246:247], v11, s[sgprSrdC:sgprSrdC+3], 0, offen offset:0,  sc0 sc1 // load C for beta calc
_v_add_lshl_u32 v10, v3, v0, 0x1                   // optSingleColVgpr scaleToBpe: sharedAddrVgpr <- cinRowPtr + coord0, scaled by BPE. BSHERE:coord0=0, coord0Vgpr=0
v_accvgpr_read_b32 v[vgprValuC+16], acc0 // copy acc to vreg[0]
v_accvgpr_read_b32 v[vgprValuC+17], acc4 // copy acc to vreg[1]
v_accvgpr_read_b32 v[vgprValuC+18], acc8 // copy acc to vreg[2]
v_accvgpr_read_b32 v[vgprValuC+19], acc12 // copy acc to vreg[3]
v_accvgpr_read_b32 v[vgprValuC+20], acc1 // copy acc to vreg[4]
v_accvgpr_read_b32 v[vgprValuC+21], acc5 // copy acc to vreg[5]
v_accvgpr_read_b32 v[vgprValuC+22], acc9 // copy acc to vreg[6]
v_accvgpr_read_b32 v[vgprValuC+23], acc13 // copy acc to vreg[7]
v_accvgpr_read_b32 v[vgprValuC+28], acc2 // copy acc to vreg[8]
v_accvgpr_read_b32 v[vgprValuC+29], acc6 // copy acc to vreg[9]
v_accvgpr_read_b32 v[vgprValuC+30], acc10 // copy acc to vreg[10]
v_accvgpr_read_b32 v[vgprValuC+31], acc14 // copy acc to vreg[11]
v_accvgpr_read_b32 v[vgprValuC+32], acc3 // copy acc to vreg[12]
v_accvgpr_read_b32 v[vgprValuC+33], acc7 // copy acc to vreg[13]
v_accvgpr_read_b32 v[vgprValuC+34], acc11 // copy acc to vreg[14]
v_accvgpr_read_b32 v[vgprValuC+35], acc15 // copy acc to vreg[15]
v_accvgpr_read_b32 v[vgprValuC+40], acc16 // copy acc to vreg[16]
v_accvgpr_read_b32 v[vgprValuC+41], acc20 // copy acc to vreg[17]
v_accvgpr_read_b32 v[vgprValuC+42], acc24 // copy acc to vreg[18]
v_accvgpr_read_b32 v[vgprValuC+43], acc28 // copy acc to vreg[19]
v_accvgpr_read_b32 v[vgprValuC+44], acc17 // copy acc to vreg[20]
v_accvgpr_read_b32 v[vgprValuC+45], acc21 // copy acc to vreg[21]
v_accvgpr_read_b32 v[vgprValuC+46], acc25 // copy acc to vreg[22]
v_accvgpr_read_b32 v[vgprValuC+47], acc29 // copy acc to vreg[23]
v_accvgpr_read_b32 v[vgprValuC+52], acc18 // copy acc to vreg[24]
v_accvgpr_read_b32 v[vgprValuC+53], acc22 // copy acc to vreg[25]
v_accvgpr_read_b32 v[vgprValuC+54], acc26 // copy acc to vreg[26]
v_accvgpr_read_b32 v[vgprValuC+55], acc30 // copy acc to vreg[27]
v_accvgpr_read_b32 v[vgprValuC+56], acc19 // copy acc to vreg[28]
v_accvgpr_read_b32 v[vgprValuC+57], acc23 // copy acc to vreg[29]
v_accvgpr_read_b32 v[vgprValuC+58], acc27 // copy acc to vreg[30]
v_accvgpr_read_b32 v[vgprValuC+59], acc31 // copy acc to vreg[31]
v_accvgpr_read_b32 v[vgprValuC+64], acc32 // copy acc to vreg[32]
v_accvgpr_read_b32 v[vgprValuC+65], acc36 // copy acc to vreg[33]
v_accvgpr_read_b32 v[vgprValuC+66], acc40 // copy acc to vreg[34]
v_accvgpr_read_b32 v[vgprValuC+67], acc44 // copy acc to vreg[35]
v_accvgpr_read_b32 v[vgprValuC+68], acc33 // copy acc to vreg[36]
v_accvgpr_read_b32 v[vgprValuC+69], acc37 // copy acc to vreg[37]
v_accvgpr_read_b32 v[vgprValuC+70], acc41 // copy acc to vreg[38]
v_accvgpr_read_b32 v[vgprValuC+71], acc45 // copy acc to vreg[39]
v_accvgpr_read_b32 v[vgprValuC+76], acc34 // copy acc to vreg[40]
v_accvgpr_read_b32 v[vgprValuC+77], acc38 // copy acc to vreg[41]
v_accvgpr_read_b32 v[vgprValuC+78], acc42 // copy acc to vreg[42]
v_accvgpr_read_b32 v[vgprValuC+79], acc46 // copy acc to vreg[43]
v_accvgpr_read_b32 v[vgprValuC+80], acc35 // copy acc to vreg[44]
v_accvgpr_read_b32 v[vgprValuC+81], acc39 // copy acc to vreg[45]
v_accvgpr_read_b32 v[vgprValuC+82], acc43 // copy acc to vreg[46]
v_accvgpr_read_b32 v[vgprValuC+83], acc47 // copy acc to vreg[47]
v_accvgpr_read_b32 v[vgprValuC+88], acc48 // copy acc to vreg[48]
v_accvgpr_read_b32 v[vgprValuC+89], acc52 // copy acc to vreg[49]
v_accvgpr_read_b32 v[vgprValuC+90], acc56 // copy acc to vreg[50]
v_accvgpr_read_b32 v[vgprValuC+91], acc60 // copy acc to vreg[51]
v_accvgpr_read_b32 v[vgprValuC+92], acc49 // copy acc to vreg[52]
v_accvgpr_read_b32 v[vgprValuC+93], acc53 // copy acc to vreg[53]
v_accvgpr_read_b32 v[vgprValuC+94], acc57 // copy acc to vreg[54]
v_accvgpr_read_b32 v[vgprValuC+95], acc61 // copy acc to vreg[55]
v_accvgpr_read_b32 v[vgprValuC+100], acc50 // copy acc to vreg[56]
v_accvgpr_read_b32 v[vgprValuC+101], acc54 // copy acc to vreg[57]
v_accvgpr_read_b32 v[vgprValuC+102], acc58 // copy acc to vreg[58]
v_accvgpr_read_b32 v[vgprValuC+103], acc62 // copy acc to vreg[59]
v_accvgpr_read_b32 v[vgprValuC+104], acc51 // copy acc to vreg[60]
v_accvgpr_read_b32 v[vgprValuC+105], acc55 // copy acc to vreg[61]
v_accvgpr_read_b32 v[vgprValuC+106], acc59 // copy acc to vreg[62]
v_accvgpr_read_b32 v[vgprValuC+107], acc63 // copy acc to vreg[63]
v_accvgpr_read_b32 v[vgprValuC+112], acc64 // copy acc to vreg[64]
v_accvgpr_read_b32 v[vgprValuC+113], acc68 // copy acc to vreg[65]
v_accvgpr_read_b32 v[vgprValuC+114], acc72 // copy acc to vreg[66]
v_accvgpr_read_b32 v[vgprValuC+115], acc76 // copy acc to vreg[67]
v_accvgpr_read_b32 v[vgprValuC+116], acc65 // copy acc to vreg[68]
v_accvgpr_read_b32 v[vgprValuC+117], acc69 // copy acc to vreg[69]
v_accvgpr_read_b32 v[vgprValuC+118], acc73 // copy acc to vreg[70]
v_accvgpr_read_b32 v[vgprValuC+119], acc77 // copy acc to vreg[71]
v_accvgpr_read_b32 v[vgprValuC+124], acc66 // copy acc to vreg[72]
v_accvgpr_read_b32 v[vgprValuC+125], acc70 // copy acc to vreg[73]
v_accvgpr_read_b32 v[vgprValuC+126], acc74 // copy acc to vreg[74]
v_accvgpr_read_b32 v[vgprValuC+127], acc78 // copy acc to vreg[75]
v_accvgpr_read_b32 v[vgprValuC+128], acc67 // copy acc to vreg[76]
v_accvgpr_read_b32 v[vgprValuC+129], acc71 // copy acc to vreg[77]
v_accvgpr_read_b32 v[vgprValuC+130], acc75 // copy acc to vreg[78]
v_accvgpr_read_b32 v[vgprValuC+131], acc79 // copy acc to vreg[79]
v_accvgpr_read_b32 v[vgprValuC+136], acc80 // copy acc to vreg[80]
v_accvgpr_read_b32 v[vgprValuC+137], acc84 // copy acc to vreg[81]
v_accvgpr_read_b32 v[vgprValuC+138], acc88 // copy acc to vreg[82]
v_accvgpr_read_b32 v[vgprValuC+139], acc92 // copy acc to vreg[83]
v_accvgpr_read_b32 v[vgprValuC+140], acc81 // copy acc to vreg[84]
v_accvgpr_read_b32 v[vgprValuC+141], acc85 // copy acc to vreg[85]
v_accvgpr_read_b32 v[vgprValuC+142], acc89 // copy acc to vreg[86]
v_accvgpr_read_b32 v[vgprValuC+143], acc93 // copy acc to vreg[87]
v_accvgpr_read_b32 v[vgprValuC+148], acc82 // copy acc to vreg[88]
v_accvgpr_read_b32 v[vgprValuC+149], acc86 // copy acc to vreg[89]
v_accvgpr_read_b32 v[vgprValuC+150], acc90 // copy acc to vreg[90]
v_accvgpr_read_b32 v[vgprValuC+151], acc94 // copy acc to vreg[91]
v_accvgpr_read_b32 v[vgprValuC+152], acc83 // copy acc to vreg[92]
v_accvgpr_read_b32 v[vgprValuC+153], acc87 // copy acc to vreg[93]
v_accvgpr_read_b32 v[vgprValuC+154], acc91 // copy acc to vreg[94]
v_accvgpr_read_b32 v[vgprValuC+155], acc95 // copy acc to vreg[95]
v_accvgpr_read_b32 v[vgprValuC+160], acc96 // copy acc to vreg[96]
v_accvgpr_read_b32 v[vgprValuC+161], acc100 // copy acc to vreg[97]
v_accvgpr_read_b32 v[vgprValuC+162], acc104 // copy acc to vreg[98]
v_accvgpr_read_b32 v[vgprValuC+163], acc108 // copy acc to vreg[99]
v_accvgpr_read_b32 v[vgprValuC+164], acc97 // copy acc to vreg[100]
v_accvgpr_read_b32 v[vgprValuC+165], acc101 // copy acc to vreg[101]
v_accvgpr_read_b32 v[vgprValuC+166], acc105 // copy acc to vreg[102]
v_accvgpr_read_b32 v[vgprValuC+167], acc109 // copy acc to vreg[103]
v_accvgpr_read_b32 v[vgprValuC+172], acc98 // copy acc to vreg[104]
v_accvgpr_read_b32 v[vgprValuC+173], acc102 // copy acc to vreg[105]
v_accvgpr_read_b32 v[vgprValuC+174], acc106 // copy acc to vreg[106]
v_accvgpr_read_b32 v[vgprValuC+175], acc110 // copy acc to vreg[107]
v_accvgpr_read_b32 v[vgprValuC+176], acc99 // copy acc to vreg[108]
v_accvgpr_read_b32 v[vgprValuC+177], acc103 // copy acc to vreg[109]
v_accvgpr_read_b32 v[vgprValuC+178], acc107 // copy acc to vreg[110]
v_accvgpr_read_b32 v[vgprValuC+179], acc111 // copy acc to vreg[111]
v_accvgpr_read_b32 v[vgprValuC+184], acc112 // copy acc to vreg[112]
v_accvgpr_read_b32 v[vgprValuC+185], acc116 // copy acc to vreg[113]
v_accvgpr_read_b32 v[vgprValuC+186], acc120 // copy acc to vreg[114]
v_accvgpr_read_b32 v[vgprValuC+187], acc124 // copy acc to vreg[115]
v_accvgpr_read_b32 v[vgprValuC+188], acc113 // copy acc to vreg[116]
v_accvgpr_read_b32 v[vgprValuC+189], acc117 // copy acc to vreg[117]
v_accvgpr_read_b32 v[vgprValuC+190], acc121 // copy acc to vreg[118]
v_accvgpr_read_b32 v[vgprValuC+191], acc125 // copy acc to vreg[119]
v_accvgpr_read_b32 v[vgprValuC+196], acc114 // copy acc to vreg[120]
v_accvgpr_read_b32 v[vgprValuC+197], acc118 // copy acc to vreg[121]
v_accvgpr_read_b32 v[vgprValuC+198], acc122 // copy acc to vreg[122]
v_accvgpr_read_b32 v[vgprValuC+199], acc126 // copy acc to vreg[123]
v_accvgpr_read_b32 v[vgprValuC+200], acc115 // copy acc to vreg[124]
v_accvgpr_read_b32 v[vgprValuC+201], acc119 // copy acc to vreg[125]
v_accvgpr_read_b32 v[vgprValuC+202], acc123 // copy acc to vreg[126]
v_accvgpr_read_b32 v[vgprValuC+203], acc127 // copy acc to vreg[127]
v_accvgpr_read_b32 v[vgprValuC+208], acc128 // copy acc to vreg[128]
v_accvgpr_read_b32 v[vgprValuC+209], acc132 // copy acc to vreg[129]
v_accvgpr_read_b32 v[vgprValuC+210], acc136 // copy acc to vreg[130]
v_accvgpr_read_b32 v[vgprValuC+211], acc140 // copy acc to vreg[131]
v_accvgpr_read_b32 v[vgprValuC+212], acc129 // copy acc to vreg[132]
v_accvgpr_read_b32 v[vgprValuC+213], acc133 // copy acc to vreg[133]
v_accvgpr_read_b32 v[vgprValuC+214], acc137 // copy acc to vreg[134]
v_accvgpr_read_b32 v[vgprValuC+215], acc141 // copy acc to vreg[135]
v_accvgpr_read_b32 v[vgprValuC+220], acc130 // copy acc to vreg[136]
v_accvgpr_read_b32 v[vgprValuC+221], acc134 // copy acc to vreg[137]
v_accvgpr_read_b32 v[vgprValuC+222], acc138 // copy acc to vreg[138]
v_accvgpr_read_b32 v[vgprValuC+223], acc142 // copy acc to vreg[139]
v_accvgpr_read_b32 v[vgprValuC+224], acc131 // copy acc to vreg[140]
v_accvgpr_read_b32 v[vgprValuC+225], acc135 // copy acc to vreg[141]
v_accvgpr_read_b32 v[vgprValuC+226], acc139 // copy acc to vreg[142]
v_accvgpr_read_b32 v[vgprValuC+227], acc143 // copy acc to vreg[143]
v_accvgpr_read_b32 v[vgprValuC+232], acc144 // copy acc to vreg[144]
v_accvgpr_read_b32 v[vgprValuC+233], acc148 // copy acc to vreg[145]
v_accvgpr_read_b32 v[vgprValuC+234], acc152 // copy acc to vreg[146]
v_accvgpr_read_b32 v[vgprValuC+235], acc156 // copy acc to vreg[147]
v_accvgpr_read_b32 v[vgprValuC+236], acc145 // copy acc to vreg[148]
v_accvgpr_read_b32 v[vgprValuC+237], acc149 // copy acc to vreg[149]
v_accvgpr_read_b32 v[vgprValuC+238], acc153 // copy acc to vreg[150]
v_accvgpr_read_b32 v[vgprValuC+239], acc157 // copy acc to vreg[151]
v_accvgpr_read_b32 v[vgprValuC+248], acc146 // copy acc to vreg[152]
v_accvgpr_read_b32 v[vgprValuC+249], acc150 // copy acc to vreg[153]
v_accvgpr_read_b32 v[vgprValuC+250], acc154 // copy acc to vreg[154]
v_accvgpr_read_b32 v[vgprValuC+251], acc158 // copy acc to vreg[155]
v_accvgpr_read_b32 v[vgprValuC+252], acc147 // copy acc to vreg[156]
v_accvgpr_read_b32 v[vgprValuC+253], acc151 // copy acc to vreg[157]
v_accvgpr_read_b32 v[vgprValuC+254], acc155 // copy acc to vreg[158]
v_accvgpr_read_b32 v[vgprValuC+255], acc159 // copy acc to vreg[159]
s_nop 1                                            // 2 wait states required before reading vgpr

/* rC *= alpha batchElements=[(0, 0, 0, 0), (0, 0, 1, 0), (0, 0, 2, 0), (0, 0, 3, 0), (1, 0, 0, 0), (1, 0, 1, 0), (1, 0, 2, 0), (1, 0, 3, 0), (2, 0, 0, 0), (2, 0, 1, 0), (2, 0, 2, 0), (2, 0, 3, 0), (3, 0, 0, 0), (3, 0, 1, 0), (3, 0, 2, 0), (3, 0, 3, 0), (4, 0, 0, 0), (4, 0, 1, 0), (4, 0, 2, 0), (4, 0, 3, 0), (5, 0, 0, 0), (5, 0, 1, 0), (5, 0, 2, 0), (5, 0, 3, 0), (6, 0, 0, 0), (6, 0, 1, 0), (6, 0, 2, 0), (6, 0, 3, 0), (7, 0, 0, 0), (7, 0, 1, 0), (7, 0, 2, 0), (7, 0, 3, 0), (8, 0, 0, 0), (8, 0, 1, 0), (8, 0, 2, 0), (8, 0, 3, 0), (9, 0, 0, 0), (9, 0, 1, 0), (9, 0, 2, 0), (9, 0, 3, 0)] */
v_mul_f32 v[vgprValuC+16], s[sgprAlpha], v[vgprValuC+16] // *= alpha
v_mul_f32 v[vgprValuC+17], s[sgprAlpha], v[vgprValuC+17] // *= alpha
	;; [unrolled: 1-line block ×160, first 2 shown]

/* apply mask, calc new C and issue writes */
v_mov_b32 v7, 0xffff0000                           // mask for pack two bfloat16 element to 32bit
v_mov_b32 v8, 0x7fff0000                           // fp32 Nan
v_mov_b32 v9, 0x7fff                               // rounding bias for bfloat16

s_waitcnt vmcnt(39)                                // wait C (interleaved) 39 = 40 - 0 + 0 - 1
v_lshlrev_b32 v4, 16, v12                          // convert bf16 to fp32
_v_mac_f32 v[vgprValuC+16], v4, s[sgprBeta]        // finalSum = sum*alpha + C*beta
v_and_b32 v4, v12, v7                              // convert bf16 to fp32
_v_mac_f32 v[vgprValuC+17], v4, s[sgprBeta]        // finalSum = sum*alpha + C*beta
v_lshlrev_b32 v4, 16, v13                          // convert bf16 to fp32
_v_mac_f32 v[vgprValuC+18], v4, s[sgprBeta]        // finalSum = sum*alpha + C*beta
v_and_b32 v4, v13, v7                              // convert bf16 to fp32
_v_mac_f32 v[vgprValuC+19], v4, s[sgprBeta]        // finalSum = sum*alpha + C*beta
v_cmp_u_f32 s[54:55], v[vgprValuC+16], v[vgprValuC+16] // check Nan
v_bfe_u32 v6, v[vgprValuC+16], 16, 1               // Non-Nan case: store lsb of bf16
v_add3_u32 v6, v[vgprValuC+16], v6, v9             // Non-Nan case: add lsb and the increment for rounding
v_cndmask_b32 v[vgprValuC+16], v6, v8, s[54:55]    // 
v_lshrrev_b32 v[vgprValuC+16], 16, v[vgprValuC+16] // convert C to bf16
v_cmp_u_f32 s[54:55], v[vgprValuC+17], v[vgprValuC+17] // check Nan
v_bfe_u32 v6, v[vgprValuC+17], 16, 1               // Non-Nan case: store lsb of bf16
v_add3_u32 v6, v[vgprValuC+17], v6, v9             // Non-Nan case: add lsb and the increment for rounding
v_cndmask_b32 v[vgprValuC+17], v6, v8, s[54:55]    // 
v_and_or_b32 v16, v[vgprValuC+17], v7, v[vgprValuC+16] // pack two bf16 to dword
v_cmp_u_f32 s[54:55], v[vgprValuC+18], v[vgprValuC+18] // check Nan
v_bfe_u32 v6, v[vgprValuC+18], 16, 1               // Non-Nan case: store lsb of bf16
v_add3_u32 v6, v[vgprValuC+18], v6, v9             // Non-Nan case: add lsb and the increment for rounding
v_cndmask_b32 v[vgprValuC+18], v6, v8, s[54:55]    // 
v_lshrrev_b32 v[vgprValuC+18], 16, v[vgprValuC+18] // convert C to bf16
v_cmp_u_f32 s[54:55], v[vgprValuC+19], v[vgprValuC+19] // check Nan
v_bfe_u32 v6, v[vgprValuC+19], 16, 1               // Non-Nan case: store lsb of bf16
v_add3_u32 v6, v[vgprValuC+19], v6, v9             // Non-Nan case: add lsb and the increment for rounding
v_cndmask_b32 v[vgprValuC+19], v6, v8, s[54:55]    // 
v_and_or_b32 v17, v[vgprValuC+19], v7, v[vgprValuC+18] // pack two bf16 to dword
_buffer_store_b64 v[16:17], v10, s[sgprSrdD:sgprSrdD+3], 0, offen, offset:0,  sc0 sc1 // store D

s_waitcnt vmcnt(39)                                // wait C (interleaved) 39 = 40 - 1 + 1 - 1
v_lshlrev_b32 v4, 16, v14                          // convert bf16 to fp32
_v_mac_f32 v[vgprValuC+20], v4, s[sgprBeta]        // finalSum = sum*alpha + C*beta
v_and_b32 v4, v14, v7                              // convert bf16 to fp32
_v_mac_f32 v[vgprValuC+21], v4, s[sgprBeta]        // finalSum = sum*alpha + C*beta
v_lshlrev_b32 v4, 16, v15                          // convert bf16 to fp32
_v_mac_f32 v[vgprValuC+22], v4, s[sgprBeta]        // finalSum = sum*alpha + C*beta
v_and_b32 v4, v15, v7                              // convert bf16 to fp32
_v_mac_f32 v[vgprValuC+23], v4, s[sgprBeta]        // finalSum = sum*alpha + C*beta
v_cmp_u_f32 s[54:55], v[vgprValuC+20], v[vgprValuC+20] // check Nan
v_bfe_u32 v6, v[vgprValuC+20], 16, 1               // Non-Nan case: store lsb of bf16
v_add3_u32 v6, v[vgprValuC+20], v6, v9             // Non-Nan case: add lsb and the increment for rounding
v_cndmask_b32 v[vgprValuC+20], v6, v8, s[54:55]    // 
v_lshrrev_b32 v[vgprValuC+20], 16, v[vgprValuC+20] // convert C to bf16
v_cmp_u_f32 s[54:55], v[vgprValuC+21], v[vgprValuC+21] // check Nan
v_bfe_u32 v6, v[vgprValuC+21], 16, 1               // Non-Nan case: store lsb of bf16
v_add3_u32 v6, v[vgprValuC+21], v6, v9             // Non-Nan case: add lsb and the increment for rounding
v_cndmask_b32 v[vgprValuC+21], v6, v8, s[54:55]    // 
v_and_or_b32 v20, v[vgprValuC+21], v7, v[vgprValuC+20] // pack two bf16 to dword
v_cmp_u_f32 s[54:55], v[vgprValuC+22], v[vgprValuC+22] // check Nan
v_bfe_u32 v6, v[vgprValuC+22], 16, 1               // Non-Nan case: store lsb of bf16
v_add3_u32 v6, v[vgprValuC+22], v6, v9             // Non-Nan case: add lsb and the increment for rounding
v_cndmask_b32 v[vgprValuC+22], v6, v8, s[54:55]    // 
v_lshrrev_b32 v[vgprValuC+22], 16, v[vgprValuC+22] // convert C to bf16
v_cmp_u_f32 s[54:55], v[vgprValuC+23], v[vgprValuC+23] // check Nan
v_bfe_u32 v6, v[vgprValuC+23], 16, 1               // Non-Nan case: store lsb of bf16
v_add3_u32 v6, v[vgprValuC+23], v6, v9             // Non-Nan case: add lsb and the increment for rounding
v_cndmask_b32 v[vgprValuC+23], v6, v8, s[54:55]    // 
v_and_or_b32 v21, v[vgprValuC+23], v7, v[vgprValuC+22] // pack two bf16 to dword
s_lshl_b32  s54, s[sgprStrideD1J], 1               // incToNextRow: Scale by BPE
s_add_u32  s[sgprSrdD+0], s[sgprSrdD+0], s54       // incToNextRow: gra SRD += inc(lower)
s_addc_u32  s[sgprSrdD+1], s[sgprSrdD+1], 0        // incToNextRow: gra SRD += inc(upper)
_buffer_store_b64 v[20:21], v10, s[sgprSrdD:sgprSrdD+3], 0, offen, offset:0,  sc0 sc1 // store D

s_waitcnt vmcnt(39)                                // wait C (interleaved) 39 = 40 - 2 + 2 - 1
v_lshlrev_b32 v4, 16, v24                          // convert bf16 to fp32
_v_mac_f32 v[vgprValuC+28], v4, s[sgprBeta]        // finalSum = sum*alpha + C*beta
v_and_b32 v4, v24, v7                              // convert bf16 to fp32
_v_mac_f32 v[vgprValuC+29], v4, s[sgprBeta]        // finalSum = sum*alpha + C*beta
v_lshlrev_b32 v4, 16, v25                          // convert bf16 to fp32
_v_mac_f32 v[vgprValuC+30], v4, s[sgprBeta]        // finalSum = sum*alpha + C*beta
v_and_b32 v4, v25, v7                              // convert bf16 to fp32
_v_mac_f32 v[vgprValuC+31], v4, s[sgprBeta]        // finalSum = sum*alpha + C*beta
v_cmp_u_f32 s[54:55], v[vgprValuC+28], v[vgprValuC+28] // check Nan
v_bfe_u32 v6, v[vgprValuC+28], 16, 1               // Non-Nan case: store lsb of bf16
v_add3_u32 v6, v[vgprValuC+28], v6, v9             // Non-Nan case: add lsb and the increment for rounding
v_cndmask_b32 v[vgprValuC+28], v6, v8, s[54:55]    // 
v_lshrrev_b32 v[vgprValuC+28], 16, v[vgprValuC+28] // convert C to bf16
v_cmp_u_f32 s[54:55], v[vgprValuC+29], v[vgprValuC+29] // check Nan
v_bfe_u32 v6, v[vgprValuC+29], 16, 1               // Non-Nan case: store lsb of bf16
v_add3_u32 v6, v[vgprValuC+29], v6, v9             // Non-Nan case: add lsb and the increment for rounding
v_cndmask_b32 v[vgprValuC+29], v6, v8, s[54:55]    // 
v_and_or_b32 v28, v[vgprValuC+29], v7, v[vgprValuC+28] // pack two bf16 to dword
v_cmp_u_f32 s[54:55], v[vgprValuC+30], v[vgprValuC+30] // check Nan
v_bfe_u32 v6, v[vgprValuC+30], 16, 1               // Non-Nan case: store lsb of bf16
v_add3_u32 v6, v[vgprValuC+30], v6, v9             // Non-Nan case: add lsb and the increment for rounding
v_cndmask_b32 v[vgprValuC+30], v6, v8, s[54:55]    // 
v_lshrrev_b32 v[vgprValuC+30], 16, v[vgprValuC+30] // convert C to bf16
v_cmp_u_f32 s[54:55], v[vgprValuC+31], v[vgprValuC+31] // check Nan
v_bfe_u32 v6, v[vgprValuC+31], 16, 1               // Non-Nan case: store lsb of bf16
v_add3_u32 v6, v[vgprValuC+31], v6, v9             // Non-Nan case: add lsb and the increment for rounding
v_cndmask_b32 v[vgprValuC+31], v6, v8, s[54:55]    // 
v_and_or_b32 v29, v[vgprValuC+31], v7, v[vgprValuC+30] // pack two bf16 to dword
s_lshl_b32  s54, s[sgprStrideD1J], 1               // incToNextRow: Scale by BPE
s_add_u32  s[sgprSrdD+0], s[sgprSrdD+0], s54       // incToNextRow: gra SRD += inc(lower)
s_addc_u32  s[sgprSrdD+1], s[sgprSrdD+1], 0        // incToNextRow: gra SRD += inc(upper)
	;; [unrolled: 34-line block ×3, first 2 shown]
_buffer_store_b64 v[32:33], v10, s[sgprSrdD:sgprSrdD+3], 0, offen, offset:0,  sc0 sc1 // store D

s_waitcnt vmcnt(39)                                // wait C (interleaved) 39 = 40 - 4 + 4 - 1
v_lshlrev_b32 v4, 16, v36                          // convert bf16 to fp32
_v_mac_f32 v[vgprValuC+40], v4, s[sgprBeta]        // finalSum = sum*alpha + C*beta
v_and_b32 v4, v36, v7                              // convert bf16 to fp32
_v_mac_f32 v[vgprValuC+41], v4, s[sgprBeta]        // finalSum = sum*alpha + C*beta
v_lshlrev_b32 v4, 16, v37                          // convert bf16 to fp32
_v_mac_f32 v[vgprValuC+42], v4, s[sgprBeta]        // finalSum = sum*alpha + C*beta
v_and_b32 v4, v37, v7                              // convert bf16 to fp32
_v_mac_f32 v[vgprValuC+43], v4, s[sgprBeta]        // finalSum = sum*alpha + C*beta
v_cmp_u_f32 s[54:55], v[vgprValuC+40], v[vgprValuC+40] // check Nan
v_bfe_u32 v6, v[vgprValuC+40], 16, 1               // Non-Nan case: store lsb of bf16
v_add3_u32 v6, v[vgprValuC+40], v6, v9             // Non-Nan case: add lsb and the increment for rounding
v_cndmask_b32 v[vgprValuC+40], v6, v8, s[54:55]    // 
v_lshrrev_b32 v[vgprValuC+40], 16, v[vgprValuC+40] // convert C to bf16
v_cmp_u_f32 s[54:55], v[vgprValuC+41], v[vgprValuC+41] // check Nan
v_bfe_u32 v6, v[vgprValuC+41], 16, 1               // Non-Nan case: store lsb of bf16
v_add3_u32 v6, v[vgprValuC+41], v6, v9             // Non-Nan case: add lsb and the increment for rounding
v_cndmask_b32 v[vgprValuC+41], v6, v8, s[54:55]    // 
v_and_or_b32 v40, v[vgprValuC+41], v7, v[vgprValuC+40] // pack two bf16 to dword
v_cmp_u_f32 s[54:55], v[vgprValuC+42], v[vgprValuC+42] // check Nan
v_bfe_u32 v6, v[vgprValuC+42], 16, 1               // Non-Nan case: store lsb of bf16
v_add3_u32 v6, v[vgprValuC+42], v6, v9             // Non-Nan case: add lsb and the increment for rounding
v_cndmask_b32 v[vgprValuC+42], v6, v8, s[54:55]    // 
v_lshrrev_b32 v[vgprValuC+42], 16, v[vgprValuC+42] // convert C to bf16
v_cmp_u_f32 s[54:55], v[vgprValuC+43], v[vgprValuC+43] // check Nan
v_bfe_u32 v6, v[vgprValuC+43], 16, 1               // Non-Nan case: store lsb of bf16
v_add3_u32 v6, v[vgprValuC+43], v6, v9             // Non-Nan case: add lsb and the increment for rounding
v_cndmask_b32 v[vgprValuC+43], v6, v8, s[54:55]    // 
v_and_or_b32 v41, v[vgprValuC+43], v7, v[vgprValuC+42] // pack two bf16 to dword
s_mul_i32 s54, s[sgprStrideD1J], 26                // scale StrideD *= numRows(13) * bpe
s_add_u32  s[sgprSrdD+0], s[sgprSrdD+0], s54       // incToNextRow: gra SRD += inc(lower)
s_addc_u32  s[sgprSrdD+1], s[sgprSrdD+1], 0        // incToNextRow: gra SRD += inc(upper)
_buffer_store_b64 v[40:41], v10, s[sgprSrdD:sgprSrdD+3], 0, offen, offset:0,  sc0 sc1 // store D

s_waitcnt vmcnt(39)                                // wait C (interleaved) 39 = 40 - 5 + 5 - 1
v_lshlrev_b32 v4, 16, v38                          // convert bf16 to fp32
_v_mac_f32 v[vgprValuC+44], v4, s[sgprBeta]        // finalSum = sum*alpha + C*beta
v_and_b32 v4, v38, v7                              // convert bf16 to fp32
_v_mac_f32 v[vgprValuC+45], v4, s[sgprBeta]        // finalSum = sum*alpha + C*beta
v_lshlrev_b32 v4, 16, v39                          // convert bf16 to fp32
_v_mac_f32 v[vgprValuC+46], v4, s[sgprBeta]        // finalSum = sum*alpha + C*beta
v_and_b32 v4, v39, v7                              // convert bf16 to fp32
_v_mac_f32 v[vgprValuC+47], v4, s[sgprBeta]        // finalSum = sum*alpha + C*beta
v_cmp_u_f32 s[54:55], v[vgprValuC+44], v[vgprValuC+44] // check Nan
v_bfe_u32 v6, v[vgprValuC+44], 16, 1               // Non-Nan case: store lsb of bf16
v_add3_u32 v6, v[vgprValuC+44], v6, v9             // Non-Nan case: add lsb and the increment for rounding
v_cndmask_b32 v[vgprValuC+44], v6, v8, s[54:55]    // 
v_lshrrev_b32 v[vgprValuC+44], 16, v[vgprValuC+44] // convert C to bf16
v_cmp_u_f32 s[54:55], v[vgprValuC+45], v[vgprValuC+45] // check Nan
v_bfe_u32 v6, v[vgprValuC+45], 16, 1               // Non-Nan case: store lsb of bf16
v_add3_u32 v6, v[vgprValuC+45], v6, v9             // Non-Nan case: add lsb and the increment for rounding
v_cndmask_b32 v[vgprValuC+45], v6, v8, s[54:55]    // 
v_and_or_b32 v44, v[vgprValuC+45], v7, v[vgprValuC+44] // pack two bf16 to dword
v_cmp_u_f32 s[54:55], v[vgprValuC+46], v[vgprValuC+46] // check Nan
v_bfe_u32 v6, v[vgprValuC+46], 16, 1               // Non-Nan case: store lsb of bf16
v_add3_u32 v6, v[vgprValuC+46], v6, v9             // Non-Nan case: add lsb and the increment for rounding
v_cndmask_b32 v[vgprValuC+46], v6, v8, s[54:55]    // 
v_lshrrev_b32 v[vgprValuC+46], 16, v[vgprValuC+46] // convert C to bf16
v_cmp_u_f32 s[54:55], v[vgprValuC+47], v[vgprValuC+47] // check Nan
v_bfe_u32 v6, v[vgprValuC+47], 16, 1               // Non-Nan case: store lsb of bf16
v_add3_u32 v6, v[vgprValuC+47], v6, v9             // Non-Nan case: add lsb and the increment for rounding
v_cndmask_b32 v[vgprValuC+47], v6, v8, s[54:55]    // 
v_and_or_b32 v45, v[vgprValuC+47], v7, v[vgprValuC+46] // pack two bf16 to dword
s_lshl_b32  s54, s[sgprStrideD1J], 1               // incToNextRow: Scale by BPE
s_add_u32  s[sgprSrdD+0], s[sgprSrdD+0], s54       // incToNextRow: gra SRD += inc(lower)
s_addc_u32  s[sgprSrdD+1], s[sgprSrdD+1], 0        // incToNextRow: gra SRD += inc(upper)
_buffer_store_b64 v[44:45], v10, s[sgprSrdD:sgprSrdD+3], 0, offen, offset:0,  sc0 sc1 // store D

s_waitcnt vmcnt(39)                                // wait C (interleaved) 39 = 40 - 6 + 6 - 1
v_lshlrev_b32 v4, 16, v48                          // convert bf16 to fp32
_v_mac_f32 v[vgprValuC+52], v4, s[sgprBeta]        // finalSum = sum*alpha + C*beta
v_and_b32 v4, v48, v7                              // convert bf16 to fp32
_v_mac_f32 v[vgprValuC+53], v4, s[sgprBeta]        // finalSum = sum*alpha + C*beta
v_lshlrev_b32 v4, 16, v49                          // convert bf16 to fp32
_v_mac_f32 v[vgprValuC+54], v4, s[sgprBeta]        // finalSum = sum*alpha + C*beta
v_and_b32 v4, v49, v7                              // convert bf16 to fp32
_v_mac_f32 v[vgprValuC+55], v4, s[sgprBeta]        // finalSum = sum*alpha + C*beta
v_cmp_u_f32 s[54:55], v[vgprValuC+52], v[vgprValuC+52] // check Nan
v_bfe_u32 v6, v[vgprValuC+52], 16, 1               // Non-Nan case: store lsb of bf16
v_add3_u32 v6, v[vgprValuC+52], v6, v9             // Non-Nan case: add lsb and the increment for rounding
v_cndmask_b32 v[vgprValuC+52], v6, v8, s[54:55]    // 
v_lshrrev_b32 v[vgprValuC+52], 16, v[vgprValuC+52] // convert C to bf16
v_cmp_u_f32 s[54:55], v[vgprValuC+53], v[vgprValuC+53] // check Nan
v_bfe_u32 v6, v[vgprValuC+53], 16, 1               // Non-Nan case: store lsb of bf16
v_add3_u32 v6, v[vgprValuC+53], v6, v9             // Non-Nan case: add lsb and the increment for rounding
v_cndmask_b32 v[vgprValuC+53], v6, v8, s[54:55]    // 
v_and_or_b32 v52, v[vgprValuC+53], v7, v[vgprValuC+52] // pack two bf16 to dword
v_cmp_u_f32 s[54:55], v[vgprValuC+54], v[vgprValuC+54] // check Nan
v_bfe_u32 v6, v[vgprValuC+54], 16, 1               // Non-Nan case: store lsb of bf16
v_add3_u32 v6, v[vgprValuC+54], v6, v9             // Non-Nan case: add lsb and the increment for rounding
v_cndmask_b32 v[vgprValuC+54], v6, v8, s[54:55]    // 
v_lshrrev_b32 v[vgprValuC+54], 16, v[vgprValuC+54] // convert C to bf16
v_cmp_u_f32 s[54:55], v[vgprValuC+55], v[vgprValuC+55] // check Nan
v_bfe_u32 v6, v[vgprValuC+55], 16, 1               // Non-Nan case: store lsb of bf16
v_add3_u32 v6, v[vgprValuC+55], v6, v9             // Non-Nan case: add lsb and the increment for rounding
v_cndmask_b32 v[vgprValuC+55], v6, v8, s[54:55]    // 
v_and_or_b32 v53, v[vgprValuC+55], v7, v[vgprValuC+54] // pack two bf16 to dword
s_lshl_b32  s54, s[sgprStrideD1J], 1               // incToNextRow: Scale by BPE
	;; [unrolled: 34-line block ×3, first 2 shown]
s_add_u32  s[sgprSrdD+0], s[sgprSrdD+0], s54       // incToNextRow: gra SRD += inc(lower)
s_addc_u32  s[sgprSrdD+1], s[sgprSrdD+1], 0        // incToNextRow: gra SRD += inc(upper)
_buffer_store_b64 v[56:57], v10, s[sgprSrdD:sgprSrdD+3], 0, offen, offset:0,  sc0 sc1 // store D

s_waitcnt vmcnt(39)                                // wait C (interleaved) 39 = 40 - 8 + 8 - 1
v_lshlrev_b32 v4, 16, v60                          // convert bf16 to fp32
_v_mac_f32 v[vgprValuC+64], v4, s[sgprBeta]        // finalSum = sum*alpha + C*beta
v_and_b32 v4, v60, v7                              // convert bf16 to fp32
_v_mac_f32 v[vgprValuC+65], v4, s[sgprBeta]        // finalSum = sum*alpha + C*beta
v_lshlrev_b32 v4, 16, v61                          // convert bf16 to fp32
_v_mac_f32 v[vgprValuC+66], v4, s[sgprBeta]        // finalSum = sum*alpha + C*beta
v_and_b32 v4, v61, v7                              // convert bf16 to fp32
_v_mac_f32 v[vgprValuC+67], v4, s[sgprBeta]        // finalSum = sum*alpha + C*beta
v_cmp_u_f32 s[54:55], v[vgprValuC+64], v[vgprValuC+64] // check Nan
v_bfe_u32 v6, v[vgprValuC+64], 16, 1               // Non-Nan case: store lsb of bf16
v_add3_u32 v6, v[vgprValuC+64], v6, v9             // Non-Nan case: add lsb and the increment for rounding
v_cndmask_b32 v[vgprValuC+64], v6, v8, s[54:55]    // 
v_lshrrev_b32 v[vgprValuC+64], 16, v[vgprValuC+64] // convert C to bf16
v_cmp_u_f32 s[54:55], v[vgprValuC+65], v[vgprValuC+65] // check Nan
v_bfe_u32 v6, v[vgprValuC+65], 16, 1               // Non-Nan case: store lsb of bf16
v_add3_u32 v6, v[vgprValuC+65], v6, v9             // Non-Nan case: add lsb and the increment for rounding
v_cndmask_b32 v[vgprValuC+65], v6, v8, s[54:55]    // 
v_and_or_b32 v64, v[vgprValuC+65], v7, v[vgprValuC+64] // pack two bf16 to dword
v_cmp_u_f32 s[54:55], v[vgprValuC+66], v[vgprValuC+66] // check Nan
v_bfe_u32 v6, v[vgprValuC+66], 16, 1               // Non-Nan case: store lsb of bf16
v_add3_u32 v6, v[vgprValuC+66], v6, v9             // Non-Nan case: add lsb and the increment for rounding
v_cndmask_b32 v[vgprValuC+66], v6, v8, s[54:55]    // 
v_lshrrev_b32 v[vgprValuC+66], 16, v[vgprValuC+66] // convert C to bf16
v_cmp_u_f32 s[54:55], v[vgprValuC+67], v[vgprValuC+67] // check Nan
v_bfe_u32 v6, v[vgprValuC+67], 16, 1               // Non-Nan case: store lsb of bf16
v_add3_u32 v6, v[vgprValuC+67], v6, v9             // Non-Nan case: add lsb and the increment for rounding
v_cndmask_b32 v[vgprValuC+67], v6, v8, s[54:55]    // 
v_and_or_b32 v65, v[vgprValuC+67], v7, v[vgprValuC+66] // pack two bf16 to dword
s_mul_i32 s54, s[sgprStrideD1J], 26                // scale StrideD *= numRows(13) * bpe
s_add_u32  s[sgprSrdD+0], s[sgprSrdD+0], s54       // incToNextRow: gra SRD += inc(lower)
s_addc_u32  s[sgprSrdD+1], s[sgprSrdD+1], 0        // incToNextRow: gra SRD += inc(upper)
_buffer_store_b64 v[64:65], v10, s[sgprSrdD:sgprSrdD+3], 0, offen, offset:0,  sc0 sc1 // store D

s_waitcnt vmcnt(39)                                // wait C (interleaved) 39 = 40 - 9 + 9 - 1
v_lshlrev_b32 v4, 16, v62                          // convert bf16 to fp32
_v_mac_f32 v[vgprValuC+68], v4, s[sgprBeta]        // finalSum = sum*alpha + C*beta
v_and_b32 v4, v62, v7                              // convert bf16 to fp32
_v_mac_f32 v[vgprValuC+69], v4, s[sgprBeta]        // finalSum = sum*alpha + C*beta
v_lshlrev_b32 v4, 16, v63                          // convert bf16 to fp32
_v_mac_f32 v[vgprValuC+70], v4, s[sgprBeta]        // finalSum = sum*alpha + C*beta
v_and_b32 v4, v63, v7                              // convert bf16 to fp32
_v_mac_f32 v[vgprValuC+71], v4, s[sgprBeta]        // finalSum = sum*alpha + C*beta
v_cmp_u_f32 s[54:55], v[vgprValuC+68], v[vgprValuC+68] // check Nan
v_bfe_u32 v6, v[vgprValuC+68], 16, 1               // Non-Nan case: store lsb of bf16
v_add3_u32 v6, v[vgprValuC+68], v6, v9             // Non-Nan case: add lsb and the increment for rounding
v_cndmask_b32 v[vgprValuC+68], v6, v8, s[54:55]    // 
v_lshrrev_b32 v[vgprValuC+68], 16, v[vgprValuC+68] // convert C to bf16
v_cmp_u_f32 s[54:55], v[vgprValuC+69], v[vgprValuC+69] // check Nan
v_bfe_u32 v6, v[vgprValuC+69], 16, 1               // Non-Nan case: store lsb of bf16
v_add3_u32 v6, v[vgprValuC+69], v6, v9             // Non-Nan case: add lsb and the increment for rounding
v_cndmask_b32 v[vgprValuC+69], v6, v8, s[54:55]    // 
v_and_or_b32 v68, v[vgprValuC+69], v7, v[vgprValuC+68] // pack two bf16 to dword
v_cmp_u_f32 s[54:55], v[vgprValuC+70], v[vgprValuC+70] // check Nan
v_bfe_u32 v6, v[vgprValuC+70], 16, 1               // Non-Nan case: store lsb of bf16
v_add3_u32 v6, v[vgprValuC+70], v6, v9             // Non-Nan case: add lsb and the increment for rounding
v_cndmask_b32 v[vgprValuC+70], v6, v8, s[54:55]    // 
v_lshrrev_b32 v[vgprValuC+70], 16, v[vgprValuC+70] // convert C to bf16
v_cmp_u_f32 s[54:55], v[vgprValuC+71], v[vgprValuC+71] // check Nan
v_bfe_u32 v6, v[vgprValuC+71], 16, 1               // Non-Nan case: store lsb of bf16
v_add3_u32 v6, v[vgprValuC+71], v6, v9             // Non-Nan case: add lsb and the increment for rounding
v_cndmask_b32 v[vgprValuC+71], v6, v8, s[54:55]    // 
v_and_or_b32 v69, v[vgprValuC+71], v7, v[vgprValuC+70] // pack two bf16 to dword
s_lshl_b32  s54, s[sgprStrideD1J], 1               // incToNextRow: Scale by BPE
s_add_u32  s[sgprSrdD+0], s[sgprSrdD+0], s54       // incToNextRow: gra SRD += inc(lower)
s_addc_u32  s[sgprSrdD+1], s[sgprSrdD+1], 0        // incToNextRow: gra SRD += inc(upper)
_buffer_store_b64 v[68:69], v10, s[sgprSrdD:sgprSrdD+3], 0, offen, offset:0,  sc0 sc1 // store D

s_waitcnt vmcnt(39)                                // wait C (interleaved) 39 = 40 - 10 + 10 - 1
v_lshlrev_b32 v4, 16, v72                          // convert bf16 to fp32
_v_mac_f32 v[vgprValuC+76], v4, s[sgprBeta]        // finalSum = sum*alpha + C*beta
v_and_b32 v4, v72, v7                              // convert bf16 to fp32
_v_mac_f32 v[vgprValuC+77], v4, s[sgprBeta]        // finalSum = sum*alpha + C*beta
v_lshlrev_b32 v4, 16, v73                          // convert bf16 to fp32
_v_mac_f32 v[vgprValuC+78], v4, s[sgprBeta]        // finalSum = sum*alpha + C*beta
v_and_b32 v4, v73, v7                              // convert bf16 to fp32
_v_mac_f32 v[vgprValuC+79], v4, s[sgprBeta]        // finalSum = sum*alpha + C*beta
v_cmp_u_f32 s[54:55], v[vgprValuC+76], v[vgprValuC+76] // check Nan
v_bfe_u32 v6, v[vgprValuC+76], 16, 1               // Non-Nan case: store lsb of bf16
v_add3_u32 v6, v[vgprValuC+76], v6, v9             // Non-Nan case: add lsb and the increment for rounding
v_cndmask_b32 v[vgprValuC+76], v6, v8, s[54:55]    // 
v_lshrrev_b32 v[vgprValuC+76], 16, v[vgprValuC+76] // convert C to bf16
v_cmp_u_f32 s[54:55], v[vgprValuC+77], v[vgprValuC+77] // check Nan
v_bfe_u32 v6, v[vgprValuC+77], 16, 1               // Non-Nan case: store lsb of bf16
v_add3_u32 v6, v[vgprValuC+77], v6, v9             // Non-Nan case: add lsb and the increment for rounding
v_cndmask_b32 v[vgprValuC+77], v6, v8, s[54:55]    // 
v_and_or_b32 v76, v[vgprValuC+77], v7, v[vgprValuC+76] // pack two bf16 to dword
v_cmp_u_f32 s[54:55], v[vgprValuC+78], v[vgprValuC+78] // check Nan
v_bfe_u32 v6, v[vgprValuC+78], 16, 1               // Non-Nan case: store lsb of bf16
v_add3_u32 v6, v[vgprValuC+78], v6, v9             // Non-Nan case: add lsb and the increment for rounding
v_cndmask_b32 v[vgprValuC+78], v6, v8, s[54:55]    // 
v_lshrrev_b32 v[vgprValuC+78], 16, v[vgprValuC+78] // convert C to bf16
v_cmp_u_f32 s[54:55], v[vgprValuC+79], v[vgprValuC+79] // check Nan
v_bfe_u32 v6, v[vgprValuC+79], 16, 1               // Non-Nan case: store lsb of bf16
v_add3_u32 v6, v[vgprValuC+79], v6, v9             // Non-Nan case: add lsb and the increment for rounding
v_cndmask_b32 v[vgprValuC+79], v6, v8, s[54:55]    // 
v_and_or_b32 v77, v[vgprValuC+79], v7, v[vgprValuC+78] // pack two bf16 to dword
s_lshl_b32  s54, s[sgprStrideD1J], 1               // incToNextRow: Scale by BPE
	;; [unrolled: 34-line block ×3, first 2 shown]
s_add_u32  s[sgprSrdD+0], s[sgprSrdD+0], s54       // incToNextRow: gra SRD += inc(lower)
s_addc_u32  s[sgprSrdD+1], s[sgprSrdD+1], 0        // incToNextRow: gra SRD += inc(upper)
_buffer_store_b64 v[80:81], v10, s[sgprSrdD:sgprSrdD+3], 0, offen, offset:0,  sc0 sc1 // store D

s_waitcnt vmcnt(39)                                // wait C (interleaved) 39 = 40 - 12 + 12 - 1
v_lshlrev_b32 v4, 16, v84                          // convert bf16 to fp32
_v_mac_f32 v[vgprValuC+88], v4, s[sgprBeta]        // finalSum = sum*alpha + C*beta
v_and_b32 v4, v84, v7                              // convert bf16 to fp32
_v_mac_f32 v[vgprValuC+89], v4, s[sgprBeta]        // finalSum = sum*alpha + C*beta
v_lshlrev_b32 v4, 16, v85                          // convert bf16 to fp32
_v_mac_f32 v[vgprValuC+90], v4, s[sgprBeta]        // finalSum = sum*alpha + C*beta
v_and_b32 v4, v85, v7                              // convert bf16 to fp32
_v_mac_f32 v[vgprValuC+91], v4, s[sgprBeta]        // finalSum = sum*alpha + C*beta
v_cmp_u_f32 s[54:55], v[vgprValuC+88], v[vgprValuC+88] // check Nan
v_bfe_u32 v6, v[vgprValuC+88], 16, 1               // Non-Nan case: store lsb of bf16
v_add3_u32 v6, v[vgprValuC+88], v6, v9             // Non-Nan case: add lsb and the increment for rounding
v_cndmask_b32 v[vgprValuC+88], v6, v8, s[54:55]    // 
v_lshrrev_b32 v[vgprValuC+88], 16, v[vgprValuC+88] // convert C to bf16
v_cmp_u_f32 s[54:55], v[vgprValuC+89], v[vgprValuC+89] // check Nan
v_bfe_u32 v6, v[vgprValuC+89], 16, 1               // Non-Nan case: store lsb of bf16
v_add3_u32 v6, v[vgprValuC+89], v6, v9             // Non-Nan case: add lsb and the increment for rounding
v_cndmask_b32 v[vgprValuC+89], v6, v8, s[54:55]    // 
v_and_or_b32 v88, v[vgprValuC+89], v7, v[vgprValuC+88] // pack two bf16 to dword
v_cmp_u_f32 s[54:55], v[vgprValuC+90], v[vgprValuC+90] // check Nan
v_bfe_u32 v6, v[vgprValuC+90], 16, 1               // Non-Nan case: store lsb of bf16
v_add3_u32 v6, v[vgprValuC+90], v6, v9             // Non-Nan case: add lsb and the increment for rounding
v_cndmask_b32 v[vgprValuC+90], v6, v8, s[54:55]    // 
v_lshrrev_b32 v[vgprValuC+90], 16, v[vgprValuC+90] // convert C to bf16
v_cmp_u_f32 s[54:55], v[vgprValuC+91], v[vgprValuC+91] // check Nan
v_bfe_u32 v6, v[vgprValuC+91], 16, 1               // Non-Nan case: store lsb of bf16
v_add3_u32 v6, v[vgprValuC+91], v6, v9             // Non-Nan case: add lsb and the increment for rounding
v_cndmask_b32 v[vgprValuC+91], v6, v8, s[54:55]    // 
v_and_or_b32 v89, v[vgprValuC+91], v7, v[vgprValuC+90] // pack two bf16 to dword
s_mul_i32 s54, s[sgprStrideD1J], 26                // scale StrideD *= numRows(13) * bpe
s_add_u32  s[sgprSrdD+0], s[sgprSrdD+0], s54       // incToNextRow: gra SRD += inc(lower)
s_addc_u32  s[sgprSrdD+1], s[sgprSrdD+1], 0        // incToNextRow: gra SRD += inc(upper)
_buffer_store_b64 v[88:89], v10, s[sgprSrdD:sgprSrdD+3], 0, offen, offset:0,  sc0 sc1 // store D

s_waitcnt vmcnt(39)                                // wait C (interleaved) 39 = 40 - 13 + 13 - 1
v_lshlrev_b32 v4, 16, v86                          // convert bf16 to fp32
_v_mac_f32 v[vgprValuC+92], v4, s[sgprBeta]        // finalSum = sum*alpha + C*beta
v_and_b32 v4, v86, v7                              // convert bf16 to fp32
_v_mac_f32 v[vgprValuC+93], v4, s[sgprBeta]        // finalSum = sum*alpha + C*beta
v_lshlrev_b32 v4, 16, v87                          // convert bf16 to fp32
_v_mac_f32 v[vgprValuC+94], v4, s[sgprBeta]        // finalSum = sum*alpha + C*beta
v_and_b32 v4, v87, v7                              // convert bf16 to fp32
_v_mac_f32 v[vgprValuC+95], v4, s[sgprBeta]        // finalSum = sum*alpha + C*beta
v_cmp_u_f32 s[54:55], v[vgprValuC+92], v[vgprValuC+92] // check Nan
v_bfe_u32 v6, v[vgprValuC+92], 16, 1               // Non-Nan case: store lsb of bf16
v_add3_u32 v6, v[vgprValuC+92], v6, v9             // Non-Nan case: add lsb and the increment for rounding
v_cndmask_b32 v[vgprValuC+92], v6, v8, s[54:55]    // 
v_lshrrev_b32 v[vgprValuC+92], 16, v[vgprValuC+92] // convert C to bf16
v_cmp_u_f32 s[54:55], v[vgprValuC+93], v[vgprValuC+93] // check Nan
v_bfe_u32 v6, v[vgprValuC+93], 16, 1               // Non-Nan case: store lsb of bf16
v_add3_u32 v6, v[vgprValuC+93], v6, v9             // Non-Nan case: add lsb and the increment for rounding
v_cndmask_b32 v[vgprValuC+93], v6, v8, s[54:55]    // 
v_and_or_b32 v92, v[vgprValuC+93], v7, v[vgprValuC+92] // pack two bf16 to dword
v_cmp_u_f32 s[54:55], v[vgprValuC+94], v[vgprValuC+94] // check Nan
v_bfe_u32 v6, v[vgprValuC+94], 16, 1               // Non-Nan case: store lsb of bf16
v_add3_u32 v6, v[vgprValuC+94], v6, v9             // Non-Nan case: add lsb and the increment for rounding
v_cndmask_b32 v[vgprValuC+94], v6, v8, s[54:55]    // 
v_lshrrev_b32 v[vgprValuC+94], 16, v[vgprValuC+94] // convert C to bf16
v_cmp_u_f32 s[54:55], v[vgprValuC+95], v[vgprValuC+95] // check Nan
v_bfe_u32 v6, v[vgprValuC+95], 16, 1               // Non-Nan case: store lsb of bf16
v_add3_u32 v6, v[vgprValuC+95], v6, v9             // Non-Nan case: add lsb and the increment for rounding
v_cndmask_b32 v[vgprValuC+95], v6, v8, s[54:55]    // 
v_and_or_b32 v93, v[vgprValuC+95], v7, v[vgprValuC+94] // pack two bf16 to dword
s_lshl_b32  s54, s[sgprStrideD1J], 1               // incToNextRow: Scale by BPE
s_add_u32  s[sgprSrdD+0], s[sgprSrdD+0], s54       // incToNextRow: gra SRD += inc(lower)
s_addc_u32  s[sgprSrdD+1], s[sgprSrdD+1], 0        // incToNextRow: gra SRD += inc(upper)
_buffer_store_b64 v[92:93], v10, s[sgprSrdD:sgprSrdD+3], 0, offen, offset:0,  sc0 sc1 // store D

s_waitcnt vmcnt(39)                                // wait C (interleaved) 39 = 40 - 14 + 14 - 1
v_lshlrev_b32 v4, 16, v96                          // convert bf16 to fp32
_v_mac_f32 v[vgprValuC+100], v4, s[sgprBeta]       // finalSum = sum*alpha + C*beta
v_and_b32 v4, v96, v7                              // convert bf16 to fp32
_v_mac_f32 v[vgprValuC+101], v4, s[sgprBeta]       // finalSum = sum*alpha + C*beta
v_lshlrev_b32 v4, 16, v97                          // convert bf16 to fp32
_v_mac_f32 v[vgprValuC+102], v4, s[sgprBeta]       // finalSum = sum*alpha + C*beta
v_and_b32 v4, v97, v7                              // convert bf16 to fp32
_v_mac_f32 v[vgprValuC+103], v4, s[sgprBeta]       // finalSum = sum*alpha + C*beta
v_cmp_u_f32 s[54:55], v[vgprValuC+100], v[vgprValuC+100] // check Nan
v_bfe_u32 v6, v[vgprValuC+100], 16, 1              // Non-Nan case: store lsb of bf16
v_add3_u32 v6, v[vgprValuC+100], v6, v9            // Non-Nan case: add lsb and the increment for rounding
v_cndmask_b32 v[vgprValuC+100], v6, v8, s[54:55]   // 
v_lshrrev_b32 v[vgprValuC+100], 16, v[vgprValuC+100] // convert C to bf16
v_cmp_u_f32 s[54:55], v[vgprValuC+101], v[vgprValuC+101] // check Nan
v_bfe_u32 v6, v[vgprValuC+101], 16, 1              // Non-Nan case: store lsb of bf16
v_add3_u32 v6, v[vgprValuC+101], v6, v9            // Non-Nan case: add lsb and the increment for rounding
v_cndmask_b32 v[vgprValuC+101], v6, v8, s[54:55]   // 
v_and_or_b32 v100, v[vgprValuC+101], v7, v[vgprValuC+100] // pack two bf16 to dword
v_cmp_u_f32 s[54:55], v[vgprValuC+102], v[vgprValuC+102] // check Nan
v_bfe_u32 v6, v[vgprValuC+102], 16, 1              // Non-Nan case: store lsb of bf16
v_add3_u32 v6, v[vgprValuC+102], v6, v9            // Non-Nan case: add lsb and the increment for rounding
v_cndmask_b32 v[vgprValuC+102], v6, v8, s[54:55]   // 
v_lshrrev_b32 v[vgprValuC+102], 16, v[vgprValuC+102] // convert C to bf16
v_cmp_u_f32 s[54:55], v[vgprValuC+103], v[vgprValuC+103] // check Nan
v_bfe_u32 v6, v[vgprValuC+103], 16, 1              // Non-Nan case: store lsb of bf16
v_add3_u32 v6, v[vgprValuC+103], v6, v9            // Non-Nan case: add lsb and the increment for rounding
v_cndmask_b32 v[vgprValuC+103], v6, v8, s[54:55]   // 
v_and_or_b32 v101, v[vgprValuC+103], v7, v[vgprValuC+102] // pack two bf16 to dword
s_lshl_b32  s54, s[sgprStrideD1J], 1               // incToNextRow: Scale by BPE
s_add_u32  s[sgprSrdD+0], s[sgprSrdD+0], s54       // incToNextRow: gra SRD += inc(lower)
s_addc_u32  s[sgprSrdD+1], s[sgprSrdD+1], 0        // incToNextRow: gra SRD += inc(upper)
_buffer_store_b64 v[100:101], v10, s[sgprSrdD:sgprSrdD+3], 0, offen, offset:0,  sc0 sc1 // store D

s_waitcnt vmcnt(39)                                // wait C (interleaved) 39 = 40 - 15 + 15 - 1
v_lshlrev_b32 v4, 16, v98                          // convert bf16 to fp32
_v_mac_f32 v[vgprValuC+104], v4, s[sgprBeta]       // finalSum = sum*alpha + C*beta
v_and_b32 v4, v98, v7                              // convert bf16 to fp32
_v_mac_f32 v[vgprValuC+105], v4, s[sgprBeta]       // finalSum = sum*alpha + C*beta
v_lshlrev_b32 v4, 16, v99                          // convert bf16 to fp32
_v_mac_f32 v[vgprValuC+106], v4, s[sgprBeta]       // finalSum = sum*alpha + C*beta
v_and_b32 v4, v99, v7                              // convert bf16 to fp32
_v_mac_f32 v[vgprValuC+107], v4, s[sgprBeta]       // finalSum = sum*alpha + C*beta
v_cmp_u_f32 s[54:55], v[vgprValuC+104], v[vgprValuC+104] // check Nan
v_bfe_u32 v6, v[vgprValuC+104], 16, 1              // Non-Nan case: store lsb of bf16
v_add3_u32 v6, v[vgprValuC+104], v6, v9            // Non-Nan case: add lsb and the increment for rounding
v_cndmask_b32 v[vgprValuC+104], v6, v8, s[54:55]   // 
v_lshrrev_b32 v[vgprValuC+104], 16, v[vgprValuC+104] // convert C to bf16
v_cmp_u_f32 s[54:55], v[vgprValuC+105], v[vgprValuC+105] // check Nan
v_bfe_u32 v6, v[vgprValuC+105], 16, 1              // Non-Nan case: store lsb of bf16
v_add3_u32 v6, v[vgprValuC+105], v6, v9            // Non-Nan case: add lsb and the increment for rounding
v_cndmask_b32 v[vgprValuC+105], v6, v8, s[54:55]   // 
v_and_or_b32 v104, v[vgprValuC+105], v7, v[vgprValuC+104] // pack two bf16 to dword
v_cmp_u_f32 s[54:55], v[vgprValuC+106], v[vgprValuC+106] // check Nan
v_bfe_u32 v6, v[vgprValuC+106], 16, 1              // Non-Nan case: store lsb of bf16
v_add3_u32 v6, v[vgprValuC+106], v6, v9            // Non-Nan case: add lsb and the increment for rounding
v_cndmask_b32 v[vgprValuC+106], v6, v8, s[54:55]   // 
v_lshrrev_b32 v[vgprValuC+106], 16, v[vgprValuC+106] // convert C to bf16
v_cmp_u_f32 s[54:55], v[vgprValuC+107], v[vgprValuC+107] // check Nan
v_bfe_u32 v6, v[vgprValuC+107], 16, 1              // Non-Nan case: store lsb of bf16
v_add3_u32 v6, v[vgprValuC+107], v6, v9            // Non-Nan case: add lsb and the increment for rounding
v_cndmask_b32 v[vgprValuC+107], v6, v8, s[54:55]   // 
v_and_or_b32 v105, v[vgprValuC+107], v7, v[vgprValuC+106] // pack two bf16 to dword
s_lshl_b32  s54, s[sgprStrideD1J], 1               // incToNextRow: Scale by BPE
s_add_u32  s[sgprSrdD+0], s[sgprSrdD+0], s54       // incToNextRow: gra SRD += inc(lower)
s_addc_u32  s[sgprSrdD+1], s[sgprSrdD+1], 0        // incToNextRow: gra SRD += inc(upper)
_buffer_store_b64 v[104:105], v10, s[sgprSrdD:sgprSrdD+3], 0, offen, offset:0,  sc0 sc1 // store D

s_waitcnt vmcnt(39)                                // wait C (interleaved) 39 = 40 - 16 + 16 - 1
v_lshlrev_b32 v4, 16, v108                         // convert bf16 to fp32
_v_mac_f32 v[vgprValuC+112], v4, s[sgprBeta]       // finalSum = sum*alpha + C*beta
v_and_b32 v4, v108, v7                             // convert bf16 to fp32
_v_mac_f32 v[vgprValuC+113], v4, s[sgprBeta]       // finalSum = sum*alpha + C*beta
v_lshlrev_b32 v4, 16, v109                         // convert bf16 to fp32
_v_mac_f32 v[vgprValuC+114], v4, s[sgprBeta]       // finalSum = sum*alpha + C*beta
v_and_b32 v4, v109, v7                             // convert bf16 to fp32
_v_mac_f32 v[vgprValuC+115], v4, s[sgprBeta]       // finalSum = sum*alpha + C*beta
v_cmp_u_f32 s[54:55], v[vgprValuC+112], v[vgprValuC+112] // check Nan
v_bfe_u32 v6, v[vgprValuC+112], 16, 1              // Non-Nan case: store lsb of bf16
v_add3_u32 v6, v[vgprValuC+112], v6, v9            // Non-Nan case: add lsb and the increment for rounding
v_cndmask_b32 v[vgprValuC+112], v6, v8, s[54:55]   // 
v_lshrrev_b32 v[vgprValuC+112], 16, v[vgprValuC+112] // convert C to bf16
v_cmp_u_f32 s[54:55], v[vgprValuC+113], v[vgprValuC+113] // check Nan
v_bfe_u32 v6, v[vgprValuC+113], 16, 1              // Non-Nan case: store lsb of bf16
v_add3_u32 v6, v[vgprValuC+113], v6, v9            // Non-Nan case: add lsb and the increment for rounding
v_cndmask_b32 v[vgprValuC+113], v6, v8, s[54:55]   // 
v_and_or_b32 v112, v[vgprValuC+113], v7, v[vgprValuC+112] // pack two bf16 to dword
v_cmp_u_f32 s[54:55], v[vgprValuC+114], v[vgprValuC+114] // check Nan
v_bfe_u32 v6, v[vgprValuC+114], 16, 1              // Non-Nan case: store lsb of bf16
v_add3_u32 v6, v[vgprValuC+114], v6, v9            // Non-Nan case: add lsb and the increment for rounding
v_cndmask_b32 v[vgprValuC+114], v6, v8, s[54:55]   // 
v_lshrrev_b32 v[vgprValuC+114], 16, v[vgprValuC+114] // convert C to bf16
v_cmp_u_f32 s[54:55], v[vgprValuC+115], v[vgprValuC+115] // check Nan
v_bfe_u32 v6, v[vgprValuC+115], 16, 1              // Non-Nan case: store lsb of bf16
v_add3_u32 v6, v[vgprValuC+115], v6, v9            // Non-Nan case: add lsb and the increment for rounding
v_cndmask_b32 v[vgprValuC+115], v6, v8, s[54:55]   // 
v_and_or_b32 v113, v[vgprValuC+115], v7, v[vgprValuC+114] // pack two bf16 to dword
s_mul_i32 s54, s[sgprStrideD1J], 26                // scale StrideD *= numRows(13) * bpe
s_add_u32  s[sgprSrdD+0], s[sgprSrdD+0], s54       // incToNextRow: gra SRD += inc(lower)
s_addc_u32  s[sgprSrdD+1], s[sgprSrdD+1], 0        // incToNextRow: gra SRD += inc(upper)
_buffer_store_b64 v[112:113], v10, s[sgprSrdD:sgprSrdD+3], 0, offen, offset:0,  sc0 sc1 // store D

s_waitcnt vmcnt(39)                                // wait C (interleaved) 39 = 40 - 17 + 17 - 1
v_lshlrev_b32 v4, 16, v110                         // convert bf16 to fp32
_v_mac_f32 v[vgprValuC+116], v4, s[sgprBeta]       // finalSum = sum*alpha + C*beta
v_and_b32 v4, v110, v7                             // convert bf16 to fp32
_v_mac_f32 v[vgprValuC+117], v4, s[sgprBeta]       // finalSum = sum*alpha + C*beta
v_lshlrev_b32 v4, 16, v111                         // convert bf16 to fp32
_v_mac_f32 v[vgprValuC+118], v4, s[sgprBeta]       // finalSum = sum*alpha + C*beta
v_and_b32 v4, v111, v7                             // convert bf16 to fp32
_v_mac_f32 v[vgprValuC+119], v4, s[sgprBeta]       // finalSum = sum*alpha + C*beta
v_cmp_u_f32 s[54:55], v[vgprValuC+116], v[vgprValuC+116] // check Nan
v_bfe_u32 v6, v[vgprValuC+116], 16, 1              // Non-Nan case: store lsb of bf16
v_add3_u32 v6, v[vgprValuC+116], v6, v9            // Non-Nan case: add lsb and the increment for rounding
v_cndmask_b32 v[vgprValuC+116], v6, v8, s[54:55]   // 
v_lshrrev_b32 v[vgprValuC+116], 16, v[vgprValuC+116] // convert C to bf16
v_cmp_u_f32 s[54:55], v[vgprValuC+117], v[vgprValuC+117] // check Nan
v_bfe_u32 v6, v[vgprValuC+117], 16, 1              // Non-Nan case: store lsb of bf16
v_add3_u32 v6, v[vgprValuC+117], v6, v9            // Non-Nan case: add lsb and the increment for rounding
v_cndmask_b32 v[vgprValuC+117], v6, v8, s[54:55]   // 
v_and_or_b32 v116, v[vgprValuC+117], v7, v[vgprValuC+116] // pack two bf16 to dword
v_cmp_u_f32 s[54:55], v[vgprValuC+118], v[vgprValuC+118] // check Nan
v_bfe_u32 v6, v[vgprValuC+118], 16, 1              // Non-Nan case: store lsb of bf16
v_add3_u32 v6, v[vgprValuC+118], v6, v9            // Non-Nan case: add lsb and the increment for rounding
v_cndmask_b32 v[vgprValuC+118], v6, v8, s[54:55]   // 
v_lshrrev_b32 v[vgprValuC+118], 16, v[vgprValuC+118] // convert C to bf16
v_cmp_u_f32 s[54:55], v[vgprValuC+119], v[vgprValuC+119] // check Nan
v_bfe_u32 v6, v[vgprValuC+119], 16, 1              // Non-Nan case: store lsb of bf16
v_add3_u32 v6, v[vgprValuC+119], v6, v9            // Non-Nan case: add lsb and the increment for rounding
v_cndmask_b32 v[vgprValuC+119], v6, v8, s[54:55]   // 
v_and_or_b32 v117, v[vgprValuC+119], v7, v[vgprValuC+118] // pack two bf16 to dword
s_lshl_b32  s54, s[sgprStrideD1J], 1               // incToNextRow: Scale by BPE
s_add_u32  s[sgprSrdD+0], s[sgprSrdD+0], s54       // incToNextRow: gra SRD += inc(lower)
s_addc_u32  s[sgprSrdD+1], s[sgprSrdD+1], 0        // incToNextRow: gra SRD += inc(upper)
_buffer_store_b64 v[116:117], v10, s[sgprSrdD:sgprSrdD+3], 0, offen, offset:0,  sc0 sc1 // store D

s_waitcnt vmcnt(39)                                // wait C (interleaved) 39 = 40 - 18 + 18 - 1
v_lshlrev_b32 v4, 16, v120                         // convert bf16 to fp32
_v_mac_f32 v[vgprValuC+124], v4, s[sgprBeta]       // finalSum = sum*alpha + C*beta
v_and_b32 v4, v120, v7                             // convert bf16 to fp32
_v_mac_f32 v[vgprValuC+125], v4, s[sgprBeta]       // finalSum = sum*alpha + C*beta
v_lshlrev_b32 v4, 16, v121                         // convert bf16 to fp32
_v_mac_f32 v[vgprValuC+126], v4, s[sgprBeta]       // finalSum = sum*alpha + C*beta
v_and_b32 v4, v121, v7                             // convert bf16 to fp32
_v_mac_f32 v[vgprValuC+127], v4, s[sgprBeta]       // finalSum = sum*alpha + C*beta
v_cmp_u_f32 s[54:55], v[vgprValuC+124], v[vgprValuC+124] // check Nan
v_bfe_u32 v6, v[vgprValuC+124], 16, 1              // Non-Nan case: store lsb of bf16
v_add3_u32 v6, v[vgprValuC+124], v6, v9            // Non-Nan case: add lsb and the increment for rounding
v_cndmask_b32 v[vgprValuC+124], v6, v8, s[54:55]   // 
v_lshrrev_b32 v[vgprValuC+124], 16, v[vgprValuC+124] // convert C to bf16
v_cmp_u_f32 s[54:55], v[vgprValuC+125], v[vgprValuC+125] // check Nan
v_bfe_u32 v6, v[vgprValuC+125], 16, 1              // Non-Nan case: store lsb of bf16
v_add3_u32 v6, v[vgprValuC+125], v6, v9            // Non-Nan case: add lsb and the increment for rounding
v_cndmask_b32 v[vgprValuC+125], v6, v8, s[54:55]   // 
v_and_or_b32 v124, v[vgprValuC+125], v7, v[vgprValuC+124] // pack two bf16 to dword
v_cmp_u_f32 s[54:55], v[vgprValuC+126], v[vgprValuC+126] // check Nan
v_bfe_u32 v6, v[vgprValuC+126], 16, 1              // Non-Nan case: store lsb of bf16
v_add3_u32 v6, v[vgprValuC+126], v6, v9            // Non-Nan case: add lsb and the increment for rounding
v_cndmask_b32 v[vgprValuC+126], v6, v8, s[54:55]   // 
v_lshrrev_b32 v[vgprValuC+126], 16, v[vgprValuC+126] // convert C to bf16
v_cmp_u_f32 s[54:55], v[vgprValuC+127], v[vgprValuC+127] // check Nan
v_bfe_u32 v6, v[vgprValuC+127], 16, 1              // Non-Nan case: store lsb of bf16
v_add3_u32 v6, v[vgprValuC+127], v6, v9            // Non-Nan case: add lsb and the increment for rounding
v_cndmask_b32 v[vgprValuC+127], v6, v8, s[54:55]   // 
v_and_or_b32 v125, v[vgprValuC+127], v7, v[vgprValuC+126] // pack two bf16 to dword
s_lshl_b32  s54, s[sgprStrideD1J], 1               // incToNextRow: Scale by BPE
	;; [unrolled: 34-line block ×3, first 2 shown]
s_add_u32  s[sgprSrdD+0], s[sgprSrdD+0], s54       // incToNextRow: gra SRD += inc(lower)
s_addc_u32  s[sgprSrdD+1], s[sgprSrdD+1], 0        // incToNextRow: gra SRD += inc(upper)
_buffer_store_b64 v[128:129], v10, s[sgprSrdD:sgprSrdD+3], 0, offen, offset:0,  sc0 sc1 // store D

s_waitcnt vmcnt(39)                                // wait C (interleaved) 39 = 40 - 20 + 20 - 1
v_lshlrev_b32 v4, 16, v132                         // convert bf16 to fp32
_v_mac_f32 v[vgprValuC+136], v4, s[sgprBeta]       // finalSum = sum*alpha + C*beta
v_and_b32 v4, v132, v7                             // convert bf16 to fp32
_v_mac_f32 v[vgprValuC+137], v4, s[sgprBeta]       // finalSum = sum*alpha + C*beta
v_lshlrev_b32 v4, 16, v133                         // convert bf16 to fp32
_v_mac_f32 v[vgprValuC+138], v4, s[sgprBeta]       // finalSum = sum*alpha + C*beta
v_and_b32 v4, v133, v7                             // convert bf16 to fp32
_v_mac_f32 v[vgprValuC+139], v4, s[sgprBeta]       // finalSum = sum*alpha + C*beta
v_cmp_u_f32 s[54:55], v[vgprValuC+136], v[vgprValuC+136] // check Nan
v_bfe_u32 v6, v[vgprValuC+136], 16, 1              // Non-Nan case: store lsb of bf16
v_add3_u32 v6, v[vgprValuC+136], v6, v9            // Non-Nan case: add lsb and the increment for rounding
v_cndmask_b32 v[vgprValuC+136], v6, v8, s[54:55]   // 
v_lshrrev_b32 v[vgprValuC+136], 16, v[vgprValuC+136] // convert C to bf16
v_cmp_u_f32 s[54:55], v[vgprValuC+137], v[vgprValuC+137] // check Nan
v_bfe_u32 v6, v[vgprValuC+137], 16, 1              // Non-Nan case: store lsb of bf16
v_add3_u32 v6, v[vgprValuC+137], v6, v9            // Non-Nan case: add lsb and the increment for rounding
v_cndmask_b32 v[vgprValuC+137], v6, v8, s[54:55]   // 
v_and_or_b32 v136, v[vgprValuC+137], v7, v[vgprValuC+136] // pack two bf16 to dword
v_cmp_u_f32 s[54:55], v[vgprValuC+138], v[vgprValuC+138] // check Nan
v_bfe_u32 v6, v[vgprValuC+138], 16, 1              // Non-Nan case: store lsb of bf16
v_add3_u32 v6, v[vgprValuC+138], v6, v9            // Non-Nan case: add lsb and the increment for rounding
v_cndmask_b32 v[vgprValuC+138], v6, v8, s[54:55]   // 
v_lshrrev_b32 v[vgprValuC+138], 16, v[vgprValuC+138] // convert C to bf16
v_cmp_u_f32 s[54:55], v[vgprValuC+139], v[vgprValuC+139] // check Nan
v_bfe_u32 v6, v[vgprValuC+139], 16, 1              // Non-Nan case: store lsb of bf16
v_add3_u32 v6, v[vgprValuC+139], v6, v9            // Non-Nan case: add lsb and the increment for rounding
v_cndmask_b32 v[vgprValuC+139], v6, v8, s[54:55]   // 
v_and_or_b32 v137, v[vgprValuC+139], v7, v[vgprValuC+138] // pack two bf16 to dword
s_mul_i32 s54, s[sgprStrideD1J], 26                // scale StrideD *= numRows(13) * bpe
s_add_u32  s[sgprSrdD+0], s[sgprSrdD+0], s54       // incToNextRow: gra SRD += inc(lower)
s_addc_u32  s[sgprSrdD+1], s[sgprSrdD+1], 0        // incToNextRow: gra SRD += inc(upper)
_buffer_store_b64 v[136:137], v10, s[sgprSrdD:sgprSrdD+3], 0, offen, offset:0,  sc0 sc1 // store D

s_waitcnt vmcnt(39)                                // wait C (interleaved) 39 = 40 - 21 + 21 - 1
v_lshlrev_b32 v4, 16, v134                         // convert bf16 to fp32
_v_mac_f32 v[vgprValuC+140], v4, s[sgprBeta]       // finalSum = sum*alpha + C*beta
v_and_b32 v4, v134, v7                             // convert bf16 to fp32
_v_mac_f32 v[vgprValuC+141], v4, s[sgprBeta]       // finalSum = sum*alpha + C*beta
v_lshlrev_b32 v4, 16, v135                         // convert bf16 to fp32
_v_mac_f32 v[vgprValuC+142], v4, s[sgprBeta]       // finalSum = sum*alpha + C*beta
v_and_b32 v4, v135, v7                             // convert bf16 to fp32
_v_mac_f32 v[vgprValuC+143], v4, s[sgprBeta]       // finalSum = sum*alpha + C*beta
v_cmp_u_f32 s[54:55], v[vgprValuC+140], v[vgprValuC+140] // check Nan
v_bfe_u32 v6, v[vgprValuC+140], 16, 1              // Non-Nan case: store lsb of bf16
v_add3_u32 v6, v[vgprValuC+140], v6, v9            // Non-Nan case: add lsb and the increment for rounding
v_cndmask_b32 v[vgprValuC+140], v6, v8, s[54:55]   // 
v_lshrrev_b32 v[vgprValuC+140], 16, v[vgprValuC+140] // convert C to bf16
v_cmp_u_f32 s[54:55], v[vgprValuC+141], v[vgprValuC+141] // check Nan
v_bfe_u32 v6, v[vgprValuC+141], 16, 1              // Non-Nan case: store lsb of bf16
v_add3_u32 v6, v[vgprValuC+141], v6, v9            // Non-Nan case: add lsb and the increment for rounding
v_cndmask_b32 v[vgprValuC+141], v6, v8, s[54:55]   // 
v_and_or_b32 v140, v[vgprValuC+141], v7, v[vgprValuC+140] // pack two bf16 to dword
v_cmp_u_f32 s[54:55], v[vgprValuC+142], v[vgprValuC+142] // check Nan
v_bfe_u32 v6, v[vgprValuC+142], 16, 1              // Non-Nan case: store lsb of bf16
v_add3_u32 v6, v[vgprValuC+142], v6, v9            // Non-Nan case: add lsb and the increment for rounding
v_cndmask_b32 v[vgprValuC+142], v6, v8, s[54:55]   // 
v_lshrrev_b32 v[vgprValuC+142], 16, v[vgprValuC+142] // convert C to bf16
v_cmp_u_f32 s[54:55], v[vgprValuC+143], v[vgprValuC+143] // check Nan
v_bfe_u32 v6, v[vgprValuC+143], 16, 1              // Non-Nan case: store lsb of bf16
v_add3_u32 v6, v[vgprValuC+143], v6, v9            // Non-Nan case: add lsb and the increment for rounding
v_cndmask_b32 v[vgprValuC+143], v6, v8, s[54:55]   // 
v_and_or_b32 v141, v[vgprValuC+143], v7, v[vgprValuC+142] // pack two bf16 to dword
s_lshl_b32  s54, s[sgprStrideD1J], 1               // incToNextRow: Scale by BPE
s_add_u32  s[sgprSrdD+0], s[sgprSrdD+0], s54       // incToNextRow: gra SRD += inc(lower)
s_addc_u32  s[sgprSrdD+1], s[sgprSrdD+1], 0        // incToNextRow: gra SRD += inc(upper)
_buffer_store_b64 v[140:141], v10, s[sgprSrdD:sgprSrdD+3], 0, offen, offset:0,  sc0 sc1 // store D

s_waitcnt vmcnt(39)                                // wait C (interleaved) 39 = 40 - 22 + 22 - 1
v_lshlrev_b32 v4, 16, v144                         // convert bf16 to fp32
_v_mac_f32 v[vgprValuC+148], v4, s[sgprBeta]       // finalSum = sum*alpha + C*beta
v_and_b32 v4, v144, v7                             // convert bf16 to fp32
_v_mac_f32 v[vgprValuC+149], v4, s[sgprBeta]       // finalSum = sum*alpha + C*beta
v_lshlrev_b32 v4, 16, v145                         // convert bf16 to fp32
_v_mac_f32 v[vgprValuC+150], v4, s[sgprBeta]       // finalSum = sum*alpha + C*beta
v_and_b32 v4, v145, v7                             // convert bf16 to fp32
_v_mac_f32 v[vgprValuC+151], v4, s[sgprBeta]       // finalSum = sum*alpha + C*beta
v_cmp_u_f32 s[54:55], v[vgprValuC+148], v[vgprValuC+148] // check Nan
v_bfe_u32 v6, v[vgprValuC+148], 16, 1              // Non-Nan case: store lsb of bf16
v_add3_u32 v6, v[vgprValuC+148], v6, v9            // Non-Nan case: add lsb and the increment for rounding
v_cndmask_b32 v[vgprValuC+148], v6, v8, s[54:55]   // 
v_lshrrev_b32 v[vgprValuC+148], 16, v[vgprValuC+148] // convert C to bf16
v_cmp_u_f32 s[54:55], v[vgprValuC+149], v[vgprValuC+149] // check Nan
v_bfe_u32 v6, v[vgprValuC+149], 16, 1              // Non-Nan case: store lsb of bf16
v_add3_u32 v6, v[vgprValuC+149], v6, v9            // Non-Nan case: add lsb and the increment for rounding
v_cndmask_b32 v[vgprValuC+149], v6, v8, s[54:55]   // 
v_and_or_b32 v148, v[vgprValuC+149], v7, v[vgprValuC+148] // pack two bf16 to dword
v_cmp_u_f32 s[54:55], v[vgprValuC+150], v[vgprValuC+150] // check Nan
v_bfe_u32 v6, v[vgprValuC+150], 16, 1              // Non-Nan case: store lsb of bf16
v_add3_u32 v6, v[vgprValuC+150], v6, v9            // Non-Nan case: add lsb and the increment for rounding
v_cndmask_b32 v[vgprValuC+150], v6, v8, s[54:55]   // 
v_lshrrev_b32 v[vgprValuC+150], 16, v[vgprValuC+150] // convert C to bf16
v_cmp_u_f32 s[54:55], v[vgprValuC+151], v[vgprValuC+151] // check Nan
v_bfe_u32 v6, v[vgprValuC+151], 16, 1              // Non-Nan case: store lsb of bf16
v_add3_u32 v6, v[vgprValuC+151], v6, v9            // Non-Nan case: add lsb and the increment for rounding
v_cndmask_b32 v[vgprValuC+151], v6, v8, s[54:55]   // 
v_and_or_b32 v149, v[vgprValuC+151], v7, v[vgprValuC+150] // pack two bf16 to dword
s_lshl_b32  s54, s[sgprStrideD1J], 1               // incToNextRow: Scale by BPE
	;; [unrolled: 34-line block ×3, first 2 shown]
s_add_u32  s[sgprSrdD+0], s[sgprSrdD+0], s54       // incToNextRow: gra SRD += inc(lower)
s_addc_u32  s[sgprSrdD+1], s[sgprSrdD+1], 0        // incToNextRow: gra SRD += inc(upper)
_buffer_store_b64 v[152:153], v10, s[sgprSrdD:sgprSrdD+3], 0, offen, offset:0,  sc0 sc1 // store D

s_waitcnt vmcnt(39)                                // wait C (interleaved) 39 = 40 - 24 + 24 - 1
v_lshlrev_b32 v4, 16, v156                         // convert bf16 to fp32
_v_mac_f32 v[vgprValuC+160], v4, s[sgprBeta]       // finalSum = sum*alpha + C*beta
v_and_b32 v4, v156, v7                             // convert bf16 to fp32
_v_mac_f32 v[vgprValuC+161], v4, s[sgprBeta]       // finalSum = sum*alpha + C*beta
v_lshlrev_b32 v4, 16, v157                         // convert bf16 to fp32
_v_mac_f32 v[vgprValuC+162], v4, s[sgprBeta]       // finalSum = sum*alpha + C*beta
v_and_b32 v4, v157, v7                             // convert bf16 to fp32
_v_mac_f32 v[vgprValuC+163], v4, s[sgprBeta]       // finalSum = sum*alpha + C*beta
v_cmp_u_f32 s[54:55], v[vgprValuC+160], v[vgprValuC+160] // check Nan
v_bfe_u32 v6, v[vgprValuC+160], 16, 1              // Non-Nan case: store lsb of bf16
v_add3_u32 v6, v[vgprValuC+160], v6, v9            // Non-Nan case: add lsb and the increment for rounding
v_cndmask_b32 v[vgprValuC+160], v6, v8, s[54:55]   // 
v_lshrrev_b32 v[vgprValuC+160], 16, v[vgprValuC+160] // convert C to bf16
v_cmp_u_f32 s[54:55], v[vgprValuC+161], v[vgprValuC+161] // check Nan
v_bfe_u32 v6, v[vgprValuC+161], 16, 1              // Non-Nan case: store lsb of bf16
v_add3_u32 v6, v[vgprValuC+161], v6, v9            // Non-Nan case: add lsb and the increment for rounding
v_cndmask_b32 v[vgprValuC+161], v6, v8, s[54:55]   // 
v_and_or_b32 v160, v[vgprValuC+161], v7, v[vgprValuC+160] // pack two bf16 to dword
v_cmp_u_f32 s[54:55], v[vgprValuC+162], v[vgprValuC+162] // check Nan
v_bfe_u32 v6, v[vgprValuC+162], 16, 1              // Non-Nan case: store lsb of bf16
v_add3_u32 v6, v[vgprValuC+162], v6, v9            // Non-Nan case: add lsb and the increment for rounding
v_cndmask_b32 v[vgprValuC+162], v6, v8, s[54:55]   // 
v_lshrrev_b32 v[vgprValuC+162], 16, v[vgprValuC+162] // convert C to bf16
v_cmp_u_f32 s[54:55], v[vgprValuC+163], v[vgprValuC+163] // check Nan
v_bfe_u32 v6, v[vgprValuC+163], 16, 1              // Non-Nan case: store lsb of bf16
v_add3_u32 v6, v[vgprValuC+163], v6, v9            // Non-Nan case: add lsb and the increment for rounding
v_cndmask_b32 v[vgprValuC+163], v6, v8, s[54:55]   // 
v_and_or_b32 v161, v[vgprValuC+163], v7, v[vgprValuC+162] // pack two bf16 to dword
s_mul_i32 s54, s[sgprStrideD1J], 26                // scale StrideD *= numRows(13) * bpe
s_add_u32  s[sgprSrdD+0], s[sgprSrdD+0], s54       // incToNextRow: gra SRD += inc(lower)
s_addc_u32  s[sgprSrdD+1], s[sgprSrdD+1], 0        // incToNextRow: gra SRD += inc(upper)
_buffer_store_b64 v[160:161], v10, s[sgprSrdD:sgprSrdD+3], 0, offen, offset:0,  sc0 sc1 // store D

s_waitcnt vmcnt(39)                                // wait C (interleaved) 39 = 40 - 25 + 25 - 1
v_lshlrev_b32 v4, 16, v158                         // convert bf16 to fp32
_v_mac_f32 v[vgprValuC+164], v4, s[sgprBeta]       // finalSum = sum*alpha + C*beta
v_and_b32 v4, v158, v7                             // convert bf16 to fp32
_v_mac_f32 v[vgprValuC+165], v4, s[sgprBeta]       // finalSum = sum*alpha + C*beta
v_lshlrev_b32 v4, 16, v159                         // convert bf16 to fp32
_v_mac_f32 v[vgprValuC+166], v4, s[sgprBeta]       // finalSum = sum*alpha + C*beta
v_and_b32 v4, v159, v7                             // convert bf16 to fp32
_v_mac_f32 v[vgprValuC+167], v4, s[sgprBeta]       // finalSum = sum*alpha + C*beta
v_cmp_u_f32 s[54:55], v[vgprValuC+164], v[vgprValuC+164] // check Nan
v_bfe_u32 v6, v[vgprValuC+164], 16, 1              // Non-Nan case: store lsb of bf16
v_add3_u32 v6, v[vgprValuC+164], v6, v9            // Non-Nan case: add lsb and the increment for rounding
v_cndmask_b32 v[vgprValuC+164], v6, v8, s[54:55]   // 
v_lshrrev_b32 v[vgprValuC+164], 16, v[vgprValuC+164] // convert C to bf16
v_cmp_u_f32 s[54:55], v[vgprValuC+165], v[vgprValuC+165] // check Nan
v_bfe_u32 v6, v[vgprValuC+165], 16, 1              // Non-Nan case: store lsb of bf16
v_add3_u32 v6, v[vgprValuC+165], v6, v9            // Non-Nan case: add lsb and the increment for rounding
v_cndmask_b32 v[vgprValuC+165], v6, v8, s[54:55]   // 
v_and_or_b32 v164, v[vgprValuC+165], v7, v[vgprValuC+164] // pack two bf16 to dword
v_cmp_u_f32 s[54:55], v[vgprValuC+166], v[vgprValuC+166] // check Nan
v_bfe_u32 v6, v[vgprValuC+166], 16, 1              // Non-Nan case: store lsb of bf16
v_add3_u32 v6, v[vgprValuC+166], v6, v9            // Non-Nan case: add lsb and the increment for rounding
v_cndmask_b32 v[vgprValuC+166], v6, v8, s[54:55]   // 
v_lshrrev_b32 v[vgprValuC+166], 16, v[vgprValuC+166] // convert C to bf16
v_cmp_u_f32 s[54:55], v[vgprValuC+167], v[vgprValuC+167] // check Nan
v_bfe_u32 v6, v[vgprValuC+167], 16, 1              // Non-Nan case: store lsb of bf16
v_add3_u32 v6, v[vgprValuC+167], v6, v9            // Non-Nan case: add lsb and the increment for rounding
v_cndmask_b32 v[vgprValuC+167], v6, v8, s[54:55]   // 
v_and_or_b32 v165, v[vgprValuC+167], v7, v[vgprValuC+166] // pack two bf16 to dword
s_lshl_b32  s54, s[sgprStrideD1J], 1               // incToNextRow: Scale by BPE
s_add_u32  s[sgprSrdD+0], s[sgprSrdD+0], s54       // incToNextRow: gra SRD += inc(lower)
s_addc_u32  s[sgprSrdD+1], s[sgprSrdD+1], 0        // incToNextRow: gra SRD += inc(upper)
_buffer_store_b64 v[164:165], v10, s[sgprSrdD:sgprSrdD+3], 0, offen, offset:0,  sc0 sc1 // store D

s_waitcnt vmcnt(39)                                // wait C (interleaved) 39 = 40 - 26 + 26 - 1
v_lshlrev_b32 v4, 16, v168                         // convert bf16 to fp32
_v_mac_f32 v[vgprValuC+172], v4, s[sgprBeta]       // finalSum = sum*alpha + C*beta
v_and_b32 v4, v168, v7                             // convert bf16 to fp32
_v_mac_f32 v[vgprValuC+173], v4, s[sgprBeta]       // finalSum = sum*alpha + C*beta
v_lshlrev_b32 v4, 16, v169                         // convert bf16 to fp32
_v_mac_f32 v[vgprValuC+174], v4, s[sgprBeta]       // finalSum = sum*alpha + C*beta
v_and_b32 v4, v169, v7                             // convert bf16 to fp32
_v_mac_f32 v[vgprValuC+175], v4, s[sgprBeta]       // finalSum = sum*alpha + C*beta
v_cmp_u_f32 s[54:55], v[vgprValuC+172], v[vgprValuC+172] // check Nan
v_bfe_u32 v6, v[vgprValuC+172], 16, 1              // Non-Nan case: store lsb of bf16
v_add3_u32 v6, v[vgprValuC+172], v6, v9            // Non-Nan case: add lsb and the increment for rounding
v_cndmask_b32 v[vgprValuC+172], v6, v8, s[54:55]   // 
v_lshrrev_b32 v[vgprValuC+172], 16, v[vgprValuC+172] // convert C to bf16
v_cmp_u_f32 s[54:55], v[vgprValuC+173], v[vgprValuC+173] // check Nan
v_bfe_u32 v6, v[vgprValuC+173], 16, 1              // Non-Nan case: store lsb of bf16
v_add3_u32 v6, v[vgprValuC+173], v6, v9            // Non-Nan case: add lsb and the increment for rounding
v_cndmask_b32 v[vgprValuC+173], v6, v8, s[54:55]   // 
v_and_or_b32 v172, v[vgprValuC+173], v7, v[vgprValuC+172] // pack two bf16 to dword
v_cmp_u_f32 s[54:55], v[vgprValuC+174], v[vgprValuC+174] // check Nan
v_bfe_u32 v6, v[vgprValuC+174], 16, 1              // Non-Nan case: store lsb of bf16
v_add3_u32 v6, v[vgprValuC+174], v6, v9            // Non-Nan case: add lsb and the increment for rounding
v_cndmask_b32 v[vgprValuC+174], v6, v8, s[54:55]   // 
v_lshrrev_b32 v[vgprValuC+174], 16, v[vgprValuC+174] // convert C to bf16
v_cmp_u_f32 s[54:55], v[vgprValuC+175], v[vgprValuC+175] // check Nan
v_bfe_u32 v6, v[vgprValuC+175], 16, 1              // Non-Nan case: store lsb of bf16
v_add3_u32 v6, v[vgprValuC+175], v6, v9            // Non-Nan case: add lsb and the increment for rounding
v_cndmask_b32 v[vgprValuC+175], v6, v8, s[54:55]   // 
v_and_or_b32 v173, v[vgprValuC+175], v7, v[vgprValuC+174] // pack two bf16 to dword
s_lshl_b32  s54, s[sgprStrideD1J], 1               // incToNextRow: Scale by BPE
	;; [unrolled: 34-line block ×3, first 2 shown]
s_add_u32  s[sgprSrdD+0], s[sgprSrdD+0], s54       // incToNextRow: gra SRD += inc(lower)
s_addc_u32  s[sgprSrdD+1], s[sgprSrdD+1], 0        // incToNextRow: gra SRD += inc(upper)
_buffer_store_b64 v[176:177], v10, s[sgprSrdD:sgprSrdD+3], 0, offen, offset:0,  sc0 sc1 // store D

s_waitcnt vmcnt(39)                                // wait C (interleaved) 39 = 40 - 28 + 28 - 1
v_lshlrev_b32 v4, 16, v180                         // convert bf16 to fp32
_v_mac_f32 v[vgprValuC+184], v4, s[sgprBeta]       // finalSum = sum*alpha + C*beta
v_and_b32 v4, v180, v7                             // convert bf16 to fp32
_v_mac_f32 v[vgprValuC+185], v4, s[sgprBeta]       // finalSum = sum*alpha + C*beta
v_lshlrev_b32 v4, 16, v181                         // convert bf16 to fp32
_v_mac_f32 v[vgprValuC+186], v4, s[sgprBeta]       // finalSum = sum*alpha + C*beta
v_and_b32 v4, v181, v7                             // convert bf16 to fp32
_v_mac_f32 v[vgprValuC+187], v4, s[sgprBeta]       // finalSum = sum*alpha + C*beta
v_cmp_u_f32 s[54:55], v[vgprValuC+184], v[vgprValuC+184] // check Nan
v_bfe_u32 v6, v[vgprValuC+184], 16, 1              // Non-Nan case: store lsb of bf16
v_add3_u32 v6, v[vgprValuC+184], v6, v9            // Non-Nan case: add lsb and the increment for rounding
v_cndmask_b32 v[vgprValuC+184], v6, v8, s[54:55]   // 
v_lshrrev_b32 v[vgprValuC+184], 16, v[vgprValuC+184] // convert C to bf16
v_cmp_u_f32 s[54:55], v[vgprValuC+185], v[vgprValuC+185] // check Nan
v_bfe_u32 v6, v[vgprValuC+185], 16, 1              // Non-Nan case: store lsb of bf16
v_add3_u32 v6, v[vgprValuC+185], v6, v9            // Non-Nan case: add lsb and the increment for rounding
v_cndmask_b32 v[vgprValuC+185], v6, v8, s[54:55]   // 
v_and_or_b32 v184, v[vgprValuC+185], v7, v[vgprValuC+184] // pack two bf16 to dword
v_cmp_u_f32 s[54:55], v[vgprValuC+186], v[vgprValuC+186] // check Nan
v_bfe_u32 v6, v[vgprValuC+186], 16, 1              // Non-Nan case: store lsb of bf16
v_add3_u32 v6, v[vgprValuC+186], v6, v9            // Non-Nan case: add lsb and the increment for rounding
v_cndmask_b32 v[vgprValuC+186], v6, v8, s[54:55]   // 
v_lshrrev_b32 v[vgprValuC+186], 16, v[vgprValuC+186] // convert C to bf16
v_cmp_u_f32 s[54:55], v[vgprValuC+187], v[vgprValuC+187] // check Nan
v_bfe_u32 v6, v[vgprValuC+187], 16, 1              // Non-Nan case: store lsb of bf16
v_add3_u32 v6, v[vgprValuC+187], v6, v9            // Non-Nan case: add lsb and the increment for rounding
v_cndmask_b32 v[vgprValuC+187], v6, v8, s[54:55]   // 
v_and_or_b32 v185, v[vgprValuC+187], v7, v[vgprValuC+186] // pack two bf16 to dword
s_mul_i32 s54, s[sgprStrideD1J], 26                // scale StrideD *= numRows(13) * bpe
s_add_u32  s[sgprSrdD+0], s[sgprSrdD+0], s54       // incToNextRow: gra SRD += inc(lower)
s_addc_u32  s[sgprSrdD+1], s[sgprSrdD+1], 0        // incToNextRow: gra SRD += inc(upper)
_buffer_store_b64 v[184:185], v10, s[sgprSrdD:sgprSrdD+3], 0, offen, offset:0,  sc0 sc1 // store D

s_waitcnt vmcnt(39)                                // wait C (interleaved) 39 = 40 - 29 + 29 - 1
v_lshlrev_b32 v4, 16, v182                         // convert bf16 to fp32
_v_mac_f32 v[vgprValuC+188], v4, s[sgprBeta]       // finalSum = sum*alpha + C*beta
v_and_b32 v4, v182, v7                             // convert bf16 to fp32
_v_mac_f32 v[vgprValuC+189], v4, s[sgprBeta]       // finalSum = sum*alpha + C*beta
v_lshlrev_b32 v4, 16, v183                         // convert bf16 to fp32
_v_mac_f32 v[vgprValuC+190], v4, s[sgprBeta]       // finalSum = sum*alpha + C*beta
v_and_b32 v4, v183, v7                             // convert bf16 to fp32
_v_mac_f32 v[vgprValuC+191], v4, s[sgprBeta]       // finalSum = sum*alpha + C*beta
v_cmp_u_f32 s[54:55], v[vgprValuC+188], v[vgprValuC+188] // check Nan
v_bfe_u32 v6, v[vgprValuC+188], 16, 1              // Non-Nan case: store lsb of bf16
v_add3_u32 v6, v[vgprValuC+188], v6, v9            // Non-Nan case: add lsb and the increment for rounding
v_cndmask_b32 v[vgprValuC+188], v6, v8, s[54:55]   // 
v_lshrrev_b32 v[vgprValuC+188], 16, v[vgprValuC+188] // convert C to bf16
v_cmp_u_f32 s[54:55], v[vgprValuC+189], v[vgprValuC+189] // check Nan
v_bfe_u32 v6, v[vgprValuC+189], 16, 1              // Non-Nan case: store lsb of bf16
v_add3_u32 v6, v[vgprValuC+189], v6, v9            // Non-Nan case: add lsb and the increment for rounding
v_cndmask_b32 v[vgprValuC+189], v6, v8, s[54:55]   // 
v_and_or_b32 v188, v[vgprValuC+189], v7, v[vgprValuC+188] // pack two bf16 to dword
v_cmp_u_f32 s[54:55], v[vgprValuC+190], v[vgprValuC+190] // check Nan
v_bfe_u32 v6, v[vgprValuC+190], 16, 1              // Non-Nan case: store lsb of bf16
v_add3_u32 v6, v[vgprValuC+190], v6, v9            // Non-Nan case: add lsb and the increment for rounding
v_cndmask_b32 v[vgprValuC+190], v6, v8, s[54:55]   // 
v_lshrrev_b32 v[vgprValuC+190], 16, v[vgprValuC+190] // convert C to bf16
v_cmp_u_f32 s[54:55], v[vgprValuC+191], v[vgprValuC+191] // check Nan
v_bfe_u32 v6, v[vgprValuC+191], 16, 1              // Non-Nan case: store lsb of bf16
v_add3_u32 v6, v[vgprValuC+191], v6, v9            // Non-Nan case: add lsb and the increment for rounding
v_cndmask_b32 v[vgprValuC+191], v6, v8, s[54:55]   // 
v_and_or_b32 v189, v[vgprValuC+191], v7, v[vgprValuC+190] // pack two bf16 to dword
s_lshl_b32  s54, s[sgprStrideD1J], 1               // incToNextRow: Scale by BPE
s_add_u32  s[sgprSrdD+0], s[sgprSrdD+0], s54       // incToNextRow: gra SRD += inc(lower)
s_addc_u32  s[sgprSrdD+1], s[sgprSrdD+1], 0        // incToNextRow: gra SRD += inc(upper)
_buffer_store_b64 v[188:189], v10, s[sgprSrdD:sgprSrdD+3], 0, offen, offset:0,  sc0 sc1 // store D

s_waitcnt vmcnt(39)                                // wait C (interleaved) 39 = 40 - 30 + 30 - 1
v_lshlrev_b32 v4, 16, v192                         // convert bf16 to fp32
_v_mac_f32 v[vgprValuC+196], v4, s[sgprBeta]       // finalSum = sum*alpha + C*beta
v_and_b32 v4, v192, v7                             // convert bf16 to fp32
_v_mac_f32 v[vgprValuC+197], v4, s[sgprBeta]       // finalSum = sum*alpha + C*beta
v_lshlrev_b32 v4, 16, v193                         // convert bf16 to fp32
_v_mac_f32 v[vgprValuC+198], v4, s[sgprBeta]       // finalSum = sum*alpha + C*beta
v_and_b32 v4, v193, v7                             // convert bf16 to fp32
_v_mac_f32 v[vgprValuC+199], v4, s[sgprBeta]       // finalSum = sum*alpha + C*beta
v_cmp_u_f32 s[54:55], v[vgprValuC+196], v[vgprValuC+196] // check Nan
v_bfe_u32 v6, v[vgprValuC+196], 16, 1              // Non-Nan case: store lsb of bf16
v_add3_u32 v6, v[vgprValuC+196], v6, v9            // Non-Nan case: add lsb and the increment for rounding
v_cndmask_b32 v[vgprValuC+196], v6, v8, s[54:55]   // 
v_lshrrev_b32 v[vgprValuC+196], 16, v[vgprValuC+196] // convert C to bf16
v_cmp_u_f32 s[54:55], v[vgprValuC+197], v[vgprValuC+197] // check Nan
v_bfe_u32 v6, v[vgprValuC+197], 16, 1              // Non-Nan case: store lsb of bf16
v_add3_u32 v6, v[vgprValuC+197], v6, v9            // Non-Nan case: add lsb and the increment for rounding
v_cndmask_b32 v[vgprValuC+197], v6, v8, s[54:55]   // 
v_and_or_b32 v196, v[vgprValuC+197], v7, v[vgprValuC+196] // pack two bf16 to dword
v_cmp_u_f32 s[54:55], v[vgprValuC+198], v[vgprValuC+198] // check Nan
v_bfe_u32 v6, v[vgprValuC+198], 16, 1              // Non-Nan case: store lsb of bf16
v_add3_u32 v6, v[vgprValuC+198], v6, v9            // Non-Nan case: add lsb and the increment for rounding
v_cndmask_b32 v[vgprValuC+198], v6, v8, s[54:55]   // 
v_lshrrev_b32 v[vgprValuC+198], 16, v[vgprValuC+198] // convert C to bf16
v_cmp_u_f32 s[54:55], v[vgprValuC+199], v[vgprValuC+199] // check Nan
v_bfe_u32 v6, v[vgprValuC+199], 16, 1              // Non-Nan case: store lsb of bf16
v_add3_u32 v6, v[vgprValuC+199], v6, v9            // Non-Nan case: add lsb and the increment for rounding
v_cndmask_b32 v[vgprValuC+199], v6, v8, s[54:55]   // 
v_and_or_b32 v197, v[vgprValuC+199], v7, v[vgprValuC+198] // pack two bf16 to dword
s_lshl_b32  s54, s[sgprStrideD1J], 1               // incToNextRow: Scale by BPE
	;; [unrolled: 34-line block ×3, first 2 shown]
s_add_u32  s[sgprSrdD+0], s[sgprSrdD+0], s54       // incToNextRow: gra SRD += inc(lower)
s_addc_u32  s[sgprSrdD+1], s[sgprSrdD+1], 0        // incToNextRow: gra SRD += inc(upper)
_buffer_store_b64 v[200:201], v10, s[sgprSrdD:sgprSrdD+3], 0, offen, offset:0,  sc0 sc1 // store D

s_waitcnt vmcnt(39)                                // wait C (interleaved) 39 = 40 - 32 + 32 - 1
v_lshlrev_b32 v4, 16, v204                         // convert bf16 to fp32
_v_mac_f32 v[vgprValuC+208], v4, s[sgprBeta]       // finalSum = sum*alpha + C*beta
v_and_b32 v4, v204, v7                             // convert bf16 to fp32
_v_mac_f32 v[vgprValuC+209], v4, s[sgprBeta]       // finalSum = sum*alpha + C*beta
v_lshlrev_b32 v4, 16, v205                         // convert bf16 to fp32
_v_mac_f32 v[vgprValuC+210], v4, s[sgprBeta]       // finalSum = sum*alpha + C*beta
v_and_b32 v4, v205, v7                             // convert bf16 to fp32
_v_mac_f32 v[vgprValuC+211], v4, s[sgprBeta]       // finalSum = sum*alpha + C*beta
v_cmp_u_f32 s[54:55], v[vgprValuC+208], v[vgprValuC+208] // check Nan
v_bfe_u32 v6, v[vgprValuC+208], 16, 1              // Non-Nan case: store lsb of bf16
v_add3_u32 v6, v[vgprValuC+208], v6, v9            // Non-Nan case: add lsb and the increment for rounding
v_cndmask_b32 v[vgprValuC+208], v6, v8, s[54:55]   // 
v_lshrrev_b32 v[vgprValuC+208], 16, v[vgprValuC+208] // convert C to bf16
v_cmp_u_f32 s[54:55], v[vgprValuC+209], v[vgprValuC+209] // check Nan
v_bfe_u32 v6, v[vgprValuC+209], 16, 1              // Non-Nan case: store lsb of bf16
v_add3_u32 v6, v[vgprValuC+209], v6, v9            // Non-Nan case: add lsb and the increment for rounding
v_cndmask_b32 v[vgprValuC+209], v6, v8, s[54:55]   // 
v_and_or_b32 v208, v[vgprValuC+209], v7, v[vgprValuC+208] // pack two bf16 to dword
v_cmp_u_f32 s[54:55], v[vgprValuC+210], v[vgprValuC+210] // check Nan
v_bfe_u32 v6, v[vgprValuC+210], 16, 1              // Non-Nan case: store lsb of bf16
v_add3_u32 v6, v[vgprValuC+210], v6, v9            // Non-Nan case: add lsb and the increment for rounding
v_cndmask_b32 v[vgprValuC+210], v6, v8, s[54:55]   // 
v_lshrrev_b32 v[vgprValuC+210], 16, v[vgprValuC+210] // convert C to bf16
v_cmp_u_f32 s[54:55], v[vgprValuC+211], v[vgprValuC+211] // check Nan
v_bfe_u32 v6, v[vgprValuC+211], 16, 1              // Non-Nan case: store lsb of bf16
v_add3_u32 v6, v[vgprValuC+211], v6, v9            // Non-Nan case: add lsb and the increment for rounding
v_cndmask_b32 v[vgprValuC+211], v6, v8, s[54:55]   // 
v_and_or_b32 v209, v[vgprValuC+211], v7, v[vgprValuC+210] // pack two bf16 to dword
s_mul_i32 s54, s[sgprStrideD1J], 26                // scale StrideD *= numRows(13) * bpe
s_add_u32  s[sgprSrdD+0], s[sgprSrdD+0], s54       // incToNextRow: gra SRD += inc(lower)
s_addc_u32  s[sgprSrdD+1], s[sgprSrdD+1], 0        // incToNextRow: gra SRD += inc(upper)
_buffer_store_b64 v[208:209], v10, s[sgprSrdD:sgprSrdD+3], 0, offen, offset:0,  sc0 sc1 // store D

s_waitcnt vmcnt(39)                                // wait C (interleaved) 39 = 40 - 33 + 33 - 1
v_lshlrev_b32 v4, 16, v206                         // convert bf16 to fp32
_v_mac_f32 v[vgprValuC+212], v4, s[sgprBeta]       // finalSum = sum*alpha + C*beta
v_and_b32 v4, v206, v7                             // convert bf16 to fp32
_v_mac_f32 v[vgprValuC+213], v4, s[sgprBeta]       // finalSum = sum*alpha + C*beta
v_lshlrev_b32 v4, 16, v207                         // convert bf16 to fp32
_v_mac_f32 v[vgprValuC+214], v4, s[sgprBeta]       // finalSum = sum*alpha + C*beta
v_and_b32 v4, v207, v7                             // convert bf16 to fp32
_v_mac_f32 v[vgprValuC+215], v4, s[sgprBeta]       // finalSum = sum*alpha + C*beta
v_cmp_u_f32 s[54:55], v[vgprValuC+212], v[vgprValuC+212] // check Nan
v_bfe_u32 v6, v[vgprValuC+212], 16, 1              // Non-Nan case: store lsb of bf16
v_add3_u32 v6, v[vgprValuC+212], v6, v9            // Non-Nan case: add lsb and the increment for rounding
v_cndmask_b32 v[vgprValuC+212], v6, v8, s[54:55]   // 
v_lshrrev_b32 v[vgprValuC+212], 16, v[vgprValuC+212] // convert C to bf16
v_cmp_u_f32 s[54:55], v[vgprValuC+213], v[vgprValuC+213] // check Nan
v_bfe_u32 v6, v[vgprValuC+213], 16, 1              // Non-Nan case: store lsb of bf16
v_add3_u32 v6, v[vgprValuC+213], v6, v9            // Non-Nan case: add lsb and the increment for rounding
v_cndmask_b32 v[vgprValuC+213], v6, v8, s[54:55]   // 
v_and_or_b32 v212, v[vgprValuC+213], v7, v[vgprValuC+212] // pack two bf16 to dword
v_cmp_u_f32 s[54:55], v[vgprValuC+214], v[vgprValuC+214] // check Nan
v_bfe_u32 v6, v[vgprValuC+214], 16, 1              // Non-Nan case: store lsb of bf16
v_add3_u32 v6, v[vgprValuC+214], v6, v9            // Non-Nan case: add lsb and the increment for rounding
v_cndmask_b32 v[vgprValuC+214], v6, v8, s[54:55]   // 
v_lshrrev_b32 v[vgprValuC+214], 16, v[vgprValuC+214] // convert C to bf16
v_cmp_u_f32 s[54:55], v[vgprValuC+215], v[vgprValuC+215] // check Nan
v_bfe_u32 v6, v[vgprValuC+215], 16, 1              // Non-Nan case: store lsb of bf16
v_add3_u32 v6, v[vgprValuC+215], v6, v9            // Non-Nan case: add lsb and the increment for rounding
v_cndmask_b32 v[vgprValuC+215], v6, v8, s[54:55]   // 
v_and_or_b32 v213, v[vgprValuC+215], v7, v[vgprValuC+214] // pack two bf16 to dword
s_lshl_b32  s54, s[sgprStrideD1J], 1               // incToNextRow: Scale by BPE
s_add_u32  s[sgprSrdD+0], s[sgprSrdD+0], s54       // incToNextRow: gra SRD += inc(lower)
s_addc_u32  s[sgprSrdD+1], s[sgprSrdD+1], 0        // incToNextRow: gra SRD += inc(upper)
_buffer_store_b64 v[212:213], v10, s[sgprSrdD:sgprSrdD+3], 0, offen, offset:0,  sc0 sc1 // store D

s_waitcnt vmcnt(39)                                // wait C (interleaved) 39 = 40 - 34 + 34 - 1
v_lshlrev_b32 v4, 16, v216                         // convert bf16 to fp32
_v_mac_f32 v[vgprValuC+220], v4, s[sgprBeta]       // finalSum = sum*alpha + C*beta
v_and_b32 v4, v216, v7                             // convert bf16 to fp32
_v_mac_f32 v[vgprValuC+221], v4, s[sgprBeta]       // finalSum = sum*alpha + C*beta
v_lshlrev_b32 v4, 16, v217                         // convert bf16 to fp32
_v_mac_f32 v[vgprValuC+222], v4, s[sgprBeta]       // finalSum = sum*alpha + C*beta
v_and_b32 v4, v217, v7                             // convert bf16 to fp32
_v_mac_f32 v[vgprValuC+223], v4, s[sgprBeta]       // finalSum = sum*alpha + C*beta
v_cmp_u_f32 s[54:55], v[vgprValuC+220], v[vgprValuC+220] // check Nan
v_bfe_u32 v6, v[vgprValuC+220], 16, 1              // Non-Nan case: store lsb of bf16
v_add3_u32 v6, v[vgprValuC+220], v6, v9            // Non-Nan case: add lsb and the increment for rounding
v_cndmask_b32 v[vgprValuC+220], v6, v8, s[54:55]   // 
v_lshrrev_b32 v[vgprValuC+220], 16, v[vgprValuC+220] // convert C to bf16
v_cmp_u_f32 s[54:55], v[vgprValuC+221], v[vgprValuC+221] // check Nan
v_bfe_u32 v6, v[vgprValuC+221], 16, 1              // Non-Nan case: store lsb of bf16
v_add3_u32 v6, v[vgprValuC+221], v6, v9            // Non-Nan case: add lsb and the increment for rounding
v_cndmask_b32 v[vgprValuC+221], v6, v8, s[54:55]   // 
v_and_or_b32 v220, v[vgprValuC+221], v7, v[vgprValuC+220] // pack two bf16 to dword
v_cmp_u_f32 s[54:55], v[vgprValuC+222], v[vgprValuC+222] // check Nan
v_bfe_u32 v6, v[vgprValuC+222], 16, 1              // Non-Nan case: store lsb of bf16
v_add3_u32 v6, v[vgprValuC+222], v6, v9            // Non-Nan case: add lsb and the increment for rounding
v_cndmask_b32 v[vgprValuC+222], v6, v8, s[54:55]   // 
v_lshrrev_b32 v[vgprValuC+222], 16, v[vgprValuC+222] // convert C to bf16
v_cmp_u_f32 s[54:55], v[vgprValuC+223], v[vgprValuC+223] // check Nan
v_bfe_u32 v6, v[vgprValuC+223], 16, 1              // Non-Nan case: store lsb of bf16
v_add3_u32 v6, v[vgprValuC+223], v6, v9            // Non-Nan case: add lsb and the increment for rounding
v_cndmask_b32 v[vgprValuC+223], v6, v8, s[54:55]   // 
v_and_or_b32 v221, v[vgprValuC+223], v7, v[vgprValuC+222] // pack two bf16 to dword
s_lshl_b32  s54, s[sgprStrideD1J], 1               // incToNextRow: Scale by BPE
s_add_u32  s[sgprSrdD+0], s[sgprSrdD+0], s54       // incToNextRow: gra SRD += inc(lower)
s_addc_u32  s[sgprSrdD+1], s[sgprSrdD+1], 0        // incToNextRow: gra SRD += inc(upper)
_buffer_store_b64 v[220:221], v10, s[sgprSrdD:sgprSrdD+3], 0, offen, offset:0,  sc0 sc1 // store D

s_waitcnt vmcnt(39)                                // wait C (interleaved) 39 = 40 - 35 + 35 - 1
v_lshlrev_b32 v4, 16, v218                         // convert bf16 to fp32
_v_mac_f32 v[vgprValuC+224], v4, s[sgprBeta]       // finalSum = sum*alpha + C*beta
v_and_b32 v4, v218, v7                             // convert bf16 to fp32
_v_mac_f32 v[vgprValuC+225], v4, s[sgprBeta]       // finalSum = sum*alpha + C*beta
v_lshlrev_b32 v4, 16, v219                         // convert bf16 to fp32
_v_mac_f32 v[vgprValuC+226], v4, s[sgprBeta]       // finalSum = sum*alpha + C*beta
v_and_b32 v4, v219, v7                             // convert bf16 to fp32
_v_mac_f32 v[vgprValuC+227], v4, s[sgprBeta]       // finalSum = sum*alpha + C*beta
v_cmp_u_f32 s[54:55], v[vgprValuC+224], v[vgprValuC+224] // check Nan
v_bfe_u32 v6, v[vgprValuC+224], 16, 1              // Non-Nan case: store lsb of bf16
v_add3_u32 v6, v[vgprValuC+224], v6, v9            // Non-Nan case: add lsb and the increment for rounding
v_cndmask_b32 v[vgprValuC+224], v6, v8, s[54:55]   // 
v_lshrrev_b32 v[vgprValuC+224], 16, v[vgprValuC+224] // convert C to bf16
v_cmp_u_f32 s[54:55], v[vgprValuC+225], v[vgprValuC+225] // check Nan
v_bfe_u32 v6, v[vgprValuC+225], 16, 1              // Non-Nan case: store lsb of bf16
v_add3_u32 v6, v[vgprValuC+225], v6, v9            // Non-Nan case: add lsb and the increment for rounding
v_cndmask_b32 v[vgprValuC+225], v6, v8, s[54:55]   // 
v_and_or_b32 v224, v[vgprValuC+225], v7, v[vgprValuC+224] // pack two bf16 to dword
v_cmp_u_f32 s[54:55], v[vgprValuC+226], v[vgprValuC+226] // check Nan
v_bfe_u32 v6, v[vgprValuC+226], 16, 1              // Non-Nan case: store lsb of bf16
v_add3_u32 v6, v[vgprValuC+226], v6, v9            // Non-Nan case: add lsb and the increment for rounding
v_cndmask_b32 v[vgprValuC+226], v6, v8, s[54:55]   // 
v_lshrrev_b32 v[vgprValuC+226], 16, v[vgprValuC+226] // convert C to bf16
v_cmp_u_f32 s[54:55], v[vgprValuC+227], v[vgprValuC+227] // check Nan
v_bfe_u32 v6, v[vgprValuC+227], 16, 1              // Non-Nan case: store lsb of bf16
v_add3_u32 v6, v[vgprValuC+227], v6, v9            // Non-Nan case: add lsb and the increment for rounding
v_cndmask_b32 v[vgprValuC+227], v6, v8, s[54:55]   // 
v_and_or_b32 v225, v[vgprValuC+227], v7, v[vgprValuC+226] // pack two bf16 to dword
s_lshl_b32  s54, s[sgprStrideD1J], 1               // incToNextRow: Scale by BPE
s_add_u32  s[sgprSrdD+0], s[sgprSrdD+0], s54       // incToNextRow: gra SRD += inc(lower)
s_addc_u32  s[sgprSrdD+1], s[sgprSrdD+1], 0        // incToNextRow: gra SRD += inc(upper)
_buffer_store_b64 v[224:225], v10, s[sgprSrdD:sgprSrdD+3], 0, offen, offset:0,  sc0 sc1 // store D

s_waitcnt vmcnt(39)                                // wait C (interleaved) 39 = 40 - 36 + 36 - 1
v_lshlrev_b32 v4, 16, v228                         // convert bf16 to fp32
_v_mac_f32 v[vgprValuC+232], v4, s[sgprBeta]       // finalSum = sum*alpha + C*beta
v_and_b32 v4, v228, v7                             // convert bf16 to fp32
_v_mac_f32 v[vgprValuC+233], v4, s[sgprBeta]       // finalSum = sum*alpha + C*beta
v_lshlrev_b32 v4, 16, v229                         // convert bf16 to fp32
_v_mac_f32 v[vgprValuC+234], v4, s[sgprBeta]       // finalSum = sum*alpha + C*beta
v_and_b32 v4, v229, v7                             // convert bf16 to fp32
_v_mac_f32 v[vgprValuC+235], v4, s[sgprBeta]       // finalSum = sum*alpha + C*beta
v_cmp_u_f32 s[54:55], v[vgprValuC+232], v[vgprValuC+232] // check Nan
v_bfe_u32 v6, v[vgprValuC+232], 16, 1              // Non-Nan case: store lsb of bf16
v_add3_u32 v6, v[vgprValuC+232], v6, v9            // Non-Nan case: add lsb and the increment for rounding
v_cndmask_b32 v[vgprValuC+232], v6, v8, s[54:55]   // 
v_lshrrev_b32 v[vgprValuC+232], 16, v[vgprValuC+232] // convert C to bf16
v_cmp_u_f32 s[54:55], v[vgprValuC+233], v[vgprValuC+233] // check Nan
v_bfe_u32 v6, v[vgprValuC+233], 16, 1              // Non-Nan case: store lsb of bf16
v_add3_u32 v6, v[vgprValuC+233], v6, v9            // Non-Nan case: add lsb and the increment for rounding
v_cndmask_b32 v[vgprValuC+233], v6, v8, s[54:55]   // 
v_and_or_b32 v232, v[vgprValuC+233], v7, v[vgprValuC+232] // pack two bf16 to dword
v_cmp_u_f32 s[54:55], v[vgprValuC+234], v[vgprValuC+234] // check Nan
v_bfe_u32 v6, v[vgprValuC+234], 16, 1              // Non-Nan case: store lsb of bf16
v_add3_u32 v6, v[vgprValuC+234], v6, v9            // Non-Nan case: add lsb and the increment for rounding
v_cndmask_b32 v[vgprValuC+234], v6, v8, s[54:55]   // 
v_lshrrev_b32 v[vgprValuC+234], 16, v[vgprValuC+234] // convert C to bf16
v_cmp_u_f32 s[54:55], v[vgprValuC+235], v[vgprValuC+235] // check Nan
v_bfe_u32 v6, v[vgprValuC+235], 16, 1              // Non-Nan case: store lsb of bf16
v_add3_u32 v6, v[vgprValuC+235], v6, v9            // Non-Nan case: add lsb and the increment for rounding
v_cndmask_b32 v[vgprValuC+235], v6, v8, s[54:55]   // 
v_and_or_b32 v233, v[vgprValuC+235], v7, v[vgprValuC+234] // pack two bf16 to dword
s_mul_i32 s54, s[sgprStrideD1J], 26                // scale StrideD *= numRows(13) * bpe
s_add_u32  s[sgprSrdD+0], s[sgprSrdD+0], s54       // incToNextRow: gra SRD += inc(lower)
s_addc_u32  s[sgprSrdD+1], s[sgprSrdD+1], 0        // incToNextRow: gra SRD += inc(upper)
_buffer_store_b64 v[232:233], v10, s[sgprSrdD:sgprSrdD+3], 0, offen, offset:0,  sc0 sc1 // store D

s_waitcnt vmcnt(39)                                // wait C (interleaved) 39 = 40 - 37 + 37 - 1
v_lshlrev_b32 v4, 16, v230                         // convert bf16 to fp32
_v_mac_f32 v[vgprValuC+236], v4, s[sgprBeta]       // finalSum = sum*alpha + C*beta
v_and_b32 v4, v230, v7                             // convert bf16 to fp32
_v_mac_f32 v[vgprValuC+237], v4, s[sgprBeta]       // finalSum = sum*alpha + C*beta
v_lshlrev_b32 v4, 16, v231                         // convert bf16 to fp32
_v_mac_f32 v[vgprValuC+238], v4, s[sgprBeta]       // finalSum = sum*alpha + C*beta
v_and_b32 v4, v231, v7                             // convert bf16 to fp32
_v_mac_f32 v[vgprValuC+239], v4, s[sgprBeta]       // finalSum = sum*alpha + C*beta
v_cmp_u_f32 s[54:55], v[vgprValuC+236], v[vgprValuC+236] // check Nan
v_bfe_u32 v6, v[vgprValuC+236], 16, 1              // Non-Nan case: store lsb of bf16
v_add3_u32 v6, v[vgprValuC+236], v6, v9            // Non-Nan case: add lsb and the increment for rounding
v_cndmask_b32 v[vgprValuC+236], v6, v8, s[54:55]   // 
v_lshrrev_b32 v[vgprValuC+236], 16, v[vgprValuC+236] // convert C to bf16
v_cmp_u_f32 s[54:55], v[vgprValuC+237], v[vgprValuC+237] // check Nan
v_bfe_u32 v6, v[vgprValuC+237], 16, 1              // Non-Nan case: store lsb of bf16
v_add3_u32 v6, v[vgprValuC+237], v6, v9            // Non-Nan case: add lsb and the increment for rounding
v_cndmask_b32 v[vgprValuC+237], v6, v8, s[54:55]   // 
v_and_or_b32 v236, v[vgprValuC+237], v7, v[vgprValuC+236] // pack two bf16 to dword
v_cmp_u_f32 s[54:55], v[vgprValuC+238], v[vgprValuC+238] // check Nan
v_bfe_u32 v6, v[vgprValuC+238], 16, 1              // Non-Nan case: store lsb of bf16
v_add3_u32 v6, v[vgprValuC+238], v6, v9            // Non-Nan case: add lsb and the increment for rounding
v_cndmask_b32 v[vgprValuC+238], v6, v8, s[54:55]   // 
v_lshrrev_b32 v[vgprValuC+238], 16, v[vgprValuC+238] // convert C to bf16
v_cmp_u_f32 s[54:55], v[vgprValuC+239], v[vgprValuC+239] // check Nan
v_bfe_u32 v6, v[vgprValuC+239], 16, 1              // Non-Nan case: store lsb of bf16
v_add3_u32 v6, v[vgprValuC+239], v6, v9            // Non-Nan case: add lsb and the increment for rounding
v_cndmask_b32 v[vgprValuC+239], v6, v8, s[54:55]   // 
v_and_or_b32 v237, v[vgprValuC+239], v7, v[vgprValuC+238] // pack two bf16 to dword
s_lshl_b32  s54, s[sgprStrideD1J], 1               // incToNextRow: Scale by BPE
s_add_u32  s[sgprSrdD+0], s[sgprSrdD+0], s54       // incToNextRow: gra SRD += inc(lower)
s_addc_u32  s[sgprSrdD+1], s[sgprSrdD+1], 0        // incToNextRow: gra SRD += inc(upper)
_buffer_store_b64 v[236:237], v10, s[sgprSrdD:sgprSrdD+3], 0, offen, offset:0,  sc0 sc1 // store D

s_waitcnt vmcnt(39)                                // wait C (interleaved) 39 = 40 - 38 + 38 - 1
v_lshlrev_b32 v4, 16, v244                         // convert bf16 to fp32
_v_mac_f32 v[vgprValuC+248], v4, s[sgprBeta]       // finalSum = sum*alpha + C*beta
v_and_b32 v4, v244, v7                             // convert bf16 to fp32
_v_mac_f32 v[vgprValuC+249], v4, s[sgprBeta]       // finalSum = sum*alpha + C*beta
v_lshlrev_b32 v4, 16, v245                         // convert bf16 to fp32
_v_mac_f32 v[vgprValuC+250], v4, s[sgprBeta]       // finalSum = sum*alpha + C*beta
v_and_b32 v4, v245, v7                             // convert bf16 to fp32
_v_mac_f32 v[vgprValuC+251], v4, s[sgprBeta]       // finalSum = sum*alpha + C*beta
v_cmp_u_f32 s[54:55], v[vgprValuC+248], v[vgprValuC+248] // check Nan
v_bfe_u32 v6, v[vgprValuC+248], 16, 1              // Non-Nan case: store lsb of bf16
v_add3_u32 v6, v[vgprValuC+248], v6, v9            // Non-Nan case: add lsb and the increment for rounding
v_cndmask_b32 v[vgprValuC+248], v6, v8, s[54:55]   // 
v_lshrrev_b32 v[vgprValuC+248], 16, v[vgprValuC+248] // convert C to bf16
v_cmp_u_f32 s[54:55], v[vgprValuC+249], v[vgprValuC+249] // check Nan
v_bfe_u32 v6, v[vgprValuC+249], 16, 1              // Non-Nan case: store lsb of bf16
v_add3_u32 v6, v[vgprValuC+249], v6, v9            // Non-Nan case: add lsb and the increment for rounding
v_cndmask_b32 v[vgprValuC+249], v6, v8, s[54:55]   // 
v_and_or_b32 v248, v[vgprValuC+249], v7, v[vgprValuC+248] // pack two bf16 to dword
v_cmp_u_f32 s[54:55], v[vgprValuC+250], v[vgprValuC+250] // check Nan
v_bfe_u32 v6, v[vgprValuC+250], 16, 1              // Non-Nan case: store lsb of bf16
v_add3_u32 v6, v[vgprValuC+250], v6, v9            // Non-Nan case: add lsb and the increment for rounding
v_cndmask_b32 v[vgprValuC+250], v6, v8, s[54:55]   // 
v_lshrrev_b32 v[vgprValuC+250], 16, v[vgprValuC+250] // convert C to bf16
v_cmp_u_f32 s[54:55], v[vgprValuC+251], v[vgprValuC+251] // check Nan
v_bfe_u32 v6, v[vgprValuC+251], 16, 1              // Non-Nan case: store lsb of bf16
v_add3_u32 v6, v[vgprValuC+251], v6, v9            // Non-Nan case: add lsb and the increment for rounding
v_cndmask_b32 v[vgprValuC+251], v6, v8, s[54:55]   // 
v_and_or_b32 v249, v[vgprValuC+251], v7, v[vgprValuC+250] // pack two bf16 to dword
s_lshl_b32  s54, s[sgprStrideD1J], 1               // incToNextRow: Scale by BPE
s_add_u32  s[sgprSrdD+0], s[sgprSrdD+0], s54       // incToNextRow: gra SRD += inc(lower)
s_addc_u32  s[sgprSrdD+1], s[sgprSrdD+1], 0        // incToNextRow: gra SRD += inc(upper)
_buffer_store_b64 v[248:249], v10, s[sgprSrdD:sgprSrdD+3], 0, offen, offset:0,  sc0 sc1 // store D

s_waitcnt vmcnt(39)                                // wait C (interleaved) 39 = 40 - 39 + 39 - 1
v_lshlrev_b32 v4, 16, v246                         // convert bf16 to fp32
_v_mac_f32 v[vgprValuC+252], v4, s[sgprBeta]       // finalSum = sum*alpha + C*beta
v_and_b32 v4, v246, v7                             // convert bf16 to fp32
_v_mac_f32 v[vgprValuC+253], v4, s[sgprBeta]       // finalSum = sum*alpha + C*beta
v_lshlrev_b32 v4, 16, v247                         // convert bf16 to fp32
_v_mac_f32 v[vgprValuC+254], v4, s[sgprBeta]       // finalSum = sum*alpha + C*beta
v_and_b32 v4, v247, v7                             // convert bf16 to fp32
_v_mac_f32 v[vgprValuC+255], v4, s[sgprBeta]       // finalSum = sum*alpha + C*beta
v_cmp_u_f32 s[54:55], v[vgprValuC+252], v[vgprValuC+252] // check Nan
v_bfe_u32 v6, v[vgprValuC+252], 16, 1              // Non-Nan case: store lsb of bf16
v_add3_u32 v6, v[vgprValuC+252], v6, v9            // Non-Nan case: add lsb and the increment for rounding
v_cndmask_b32 v[vgprValuC+252], v6, v8, s[54:55]   // 
v_lshrrev_b32 v[vgprValuC+252], 16, v[vgprValuC+252] // convert C to bf16
v_cmp_u_f32 s[54:55], v[vgprValuC+253], v[vgprValuC+253] // check Nan
v_bfe_u32 v6, v[vgprValuC+253], 16, 1              // Non-Nan case: store lsb of bf16
v_add3_u32 v6, v[vgprValuC+253], v6, v9            // Non-Nan case: add lsb and the increment for rounding
v_cndmask_b32 v[vgprValuC+253], v6, v8, s[54:55]   // 
v_and_or_b32 v252, v[vgprValuC+253], v7, v[vgprValuC+252] // pack two bf16 to dword
v_cmp_u_f32 s[54:55], v[vgprValuC+254], v[vgprValuC+254] // check Nan
v_bfe_u32 v6, v[vgprValuC+254], 16, 1              // Non-Nan case: store lsb of bf16
v_add3_u32 v6, v[vgprValuC+254], v6, v9            // Non-Nan case: add lsb and the increment for rounding
v_cndmask_b32 v[vgprValuC+254], v6, v8, s[54:55]   // 
v_lshrrev_b32 v[vgprValuC+254], 16, v[vgprValuC+254] // convert C to bf16
v_cmp_u_f32 s[54:55], v[vgprValuC+255], v[vgprValuC+255] // check Nan
v_bfe_u32 v6, v[vgprValuC+255], 16, 1              // Non-Nan case: store lsb of bf16
v_add3_u32 v6, v[vgprValuC+255], v6, v9            // Non-Nan case: add lsb and the increment for rounding
v_cndmask_b32 v[vgprValuC+255], v6, v8, s[54:55]   // 
v_and_or_b32 v253, v[vgprValuC+255], v7, v[vgprValuC+254] // pack two bf16 to dword
s_lshl_b32  s54, s[sgprStrideD1J], 1               // incToNextRow: Scale by BPE
s_add_u32  s[sgprSrdD+0], s[sgprSrdD+0], s54       // incToNextRow: gra SRD += inc(lower)
s_addc_u32  s[sgprSrdD+1], s[sgprSrdD+1], 0        // incToNextRow: gra SRD += inc(upper)
_buffer_store_b64 v[252:253], v10, s[sgprSrdD:sgprSrdD+3], 0, offen, offset:0,  sc0 sc1 // store D
s_nop 0                                            // 1 wait state required when next inst writes vgprs held by previous dwordx4 store inst
/* optSingleColVgpr=1 optSharedColVgpr=0 optSGPRUsage=BufferLoad_Mask optSrdIncForRow=1 */

/******************************************/
/* Global Write Alpha Beta Batch #1 (d1,d0,vc1,vc0) = */
/*    (10,0,0,0:vw4); (10,0,1,0:vw4); (10,0,2,0:vw4); (10,0,3,0:vw4); (11,0,0,0:vw4); (11,0,1,0:vw4); (11,0,2,0:vw4); (11,0,3,0:vw4); (12,0,0,0:vw4); (12,0,1,0:vw4); (12,0,2,0:vw4); (12,0,3,0:vw4); (13,0,0,0:vw4); (13,0,1,0:vw4); (13,0,2,0:vw4); (13,0,3,0:vw4) */
/******************************************/

/* calc coords, apply mask, and issue loads (if necessary) */
/* (d1,vc1,d0,vc0)=(10,0,0,0) */
s_mul_i32 s54, s[sgprStrideC1J], 26                // scale StrideC *= numRows(13) * bpe
s_add_u32  s[sgprSrdC+0], s[sgprSrdC+0], s54       // incToNextRow: gra SRD += inc(lower)
s_addc_u32  s[sgprSrdC+1], s[sgprSrdC+1], 0        // incToNextRow: gra SRD += inc(upper)
_buffer_load_b64 v[12:13], v11, s[sgprSrdC:sgprSrdC+3], 0, offen offset:0,  sc0 sc1 // load C for beta calc
/* (d1,vc1,d0,vc0)=(10,1,0,0) */
s_lshl_b32  s54, s[sgprStrideC1J], 1               // incToNextRow: Scale by BPE
s_add_u32  s[sgprSrdC+0], s[sgprSrdC+0], s54       // incToNextRow: gra SRD += inc(lower)
s_addc_u32  s[sgprSrdC+1], s[sgprSrdC+1], 0        // incToNextRow: gra SRD += inc(upper)
_buffer_load_b64 v[14:15], v11, s[sgprSrdC:sgprSrdC+3], 0, offen offset:0,  sc0 sc1 // load C for beta calc
/* (d1,vc1,d0,vc0)=(10,2,0,0) */
s_lshl_b32  s54, s[sgprStrideC1J], 1               // incToNextRow: Scale by BPE
s_add_u32  s[sgprSrdC+0], s[sgprSrdC+0], s54       // incToNextRow: gra SRD += inc(lower)
s_addc_u32  s[sgprSrdC+1], s[sgprSrdC+1], 0        // incToNextRow: gra SRD += inc(upper)
_buffer_load_b64 v[24:25], v11, s[sgprSrdC:sgprSrdC+3], 0, offen offset:0,  sc0 sc1 // load C for beta calc
/* (d1,vc1,d0,vc0)=(10,3,0,0) */
s_lshl_b32  s54, s[sgprStrideC1J], 1               // incToNextRow: Scale by BPE
s_add_u32  s[sgprSrdC+0], s[sgprSrdC+0], s54       // incToNextRow: gra SRD += inc(lower)
s_addc_u32  s[sgprSrdC+1], s[sgprSrdC+1], 0        // incToNextRow: gra SRD += inc(upper)
_buffer_load_b64 v[26:27], v11, s[sgprSrdC:sgprSrdC+3], 0, offen offset:0,  sc0 sc1 // load C for beta calc
/* (d1,vc1,d0,vc0)=(11,0,0,0) */
s_mul_i32 s54, s[sgprStrideC1J], 26                // scale StrideC *= numRows(13) * bpe
s_add_u32  s[sgprSrdC+0], s[sgprSrdC+0], s54       // incToNextRow: gra SRD += inc(lower)
s_addc_u32  s[sgprSrdC+1], s[sgprSrdC+1], 0        // incToNextRow: gra SRD += inc(upper)
_buffer_load_b64 v[36:37], v11, s[sgprSrdC:sgprSrdC+3], 0, offen offset:0,  sc0 sc1 // load C for beta calc
/* (d1,vc1,d0,vc0)=(11,1,0,0) */
s_lshl_b32  s54, s[sgprStrideC1J], 1               // incToNextRow: Scale by BPE
s_add_u32  s[sgprSrdC+0], s[sgprSrdC+0], s54       // incToNextRow: gra SRD += inc(lower)
s_addc_u32  s[sgprSrdC+1], s[sgprSrdC+1], 0        // incToNextRow: gra SRD += inc(upper)
_buffer_load_b64 v[38:39], v11, s[sgprSrdC:sgprSrdC+3], 0, offen offset:0,  sc0 sc1 // load C for beta calc
/* (d1,vc1,d0,vc0)=(11,2,0,0) */
s_lshl_b32  s54, s[sgprStrideC1J], 1               // incToNextRow: Scale by BPE
s_add_u32  s[sgprSrdC+0], s[sgprSrdC+0], s54       // incToNextRow: gra SRD += inc(lower)
s_addc_u32  s[sgprSrdC+1], s[sgprSrdC+1], 0        // incToNextRow: gra SRD += inc(upper)
_buffer_load_b64 v[48:49], v11, s[sgprSrdC:sgprSrdC+3], 0, offen offset:0,  sc0 sc1 // load C for beta calc
/* (d1,vc1,d0,vc0)=(11,3,0,0) */
s_lshl_b32  s54, s[sgprStrideC1J], 1               // incToNextRow: Scale by BPE
s_add_u32  s[sgprSrdC+0], s[sgprSrdC+0], s54       // incToNextRow: gra SRD += inc(lower)
s_addc_u32  s[sgprSrdC+1], s[sgprSrdC+1], 0        // incToNextRow: gra SRD += inc(upper)
_buffer_load_b64 v[50:51], v11, s[sgprSrdC:sgprSrdC+3], 0, offen offset:0,  sc0 sc1 // load C for beta calc
	;; [unrolled: 20-line block ×4, first 2 shown]
v_accvgpr_read_b32 v[vgprValuC+16], acc160 // copy acc to vreg[160]
v_accvgpr_read_b32 v[vgprValuC+17], acc164 // copy acc to vreg[161]
v_accvgpr_read_b32 v[vgprValuC+18], acc168 // copy acc to vreg[162]
v_accvgpr_read_b32 v[vgprValuC+19], acc172 // copy acc to vreg[163]
v_accvgpr_read_b32 v[vgprValuC+20], acc161 // copy acc to vreg[164]
v_accvgpr_read_b32 v[vgprValuC+21], acc165 // copy acc to vreg[165]
v_accvgpr_read_b32 v[vgprValuC+22], acc169 // copy acc to vreg[166]
v_accvgpr_read_b32 v[vgprValuC+23], acc173 // copy acc to vreg[167]
v_accvgpr_read_b32 v[vgprValuC+28], acc162 // copy acc to vreg[168]
v_accvgpr_read_b32 v[vgprValuC+29], acc166 // copy acc to vreg[169]
v_accvgpr_read_b32 v[vgprValuC+30], acc170 // copy acc to vreg[170]
v_accvgpr_read_b32 v[vgprValuC+31], acc174 // copy acc to vreg[171]
v_accvgpr_read_b32 v[vgprValuC+32], acc163 // copy acc to vreg[172]
v_accvgpr_read_b32 v[vgprValuC+33], acc167 // copy acc to vreg[173]
v_accvgpr_read_b32 v[vgprValuC+34], acc171 // copy acc to vreg[174]
v_accvgpr_read_b32 v[vgprValuC+35], acc175 // copy acc to vreg[175]
v_accvgpr_read_b32 v[vgprValuC+40], acc176 // copy acc to vreg[176]
v_accvgpr_read_b32 v[vgprValuC+41], acc180 // copy acc to vreg[177]
v_accvgpr_read_b32 v[vgprValuC+42], acc184 // copy acc to vreg[178]
v_accvgpr_read_b32 v[vgprValuC+43], acc188 // copy acc to vreg[179]
v_accvgpr_read_b32 v[vgprValuC+44], acc177 // copy acc to vreg[180]
v_accvgpr_read_b32 v[vgprValuC+45], acc181 // copy acc to vreg[181]
v_accvgpr_read_b32 v[vgprValuC+46], acc185 // copy acc to vreg[182]
v_accvgpr_read_b32 v[vgprValuC+47], acc189 // copy acc to vreg[183]
v_accvgpr_read_b32 v[vgprValuC+52], acc178 // copy acc to vreg[184]
v_accvgpr_read_b32 v[vgprValuC+53], acc182 // copy acc to vreg[185]
v_accvgpr_read_b32 v[vgprValuC+54], acc186 // copy acc to vreg[186]
v_accvgpr_read_b32 v[vgprValuC+55], acc190 // copy acc to vreg[187]
v_accvgpr_read_b32 v[vgprValuC+56], acc179 // copy acc to vreg[188]
v_accvgpr_read_b32 v[vgprValuC+57], acc183 // copy acc to vreg[189]
v_accvgpr_read_b32 v[vgprValuC+58], acc187 // copy acc to vreg[190]
v_accvgpr_read_b32 v[vgprValuC+59], acc191 // copy acc to vreg[191]
v_accvgpr_read_b32 v[vgprValuC+64], acc192 // copy acc to vreg[192]
v_accvgpr_read_b32 v[vgprValuC+65], acc196 // copy acc to vreg[193]
v_accvgpr_read_b32 v[vgprValuC+66], acc200 // copy acc to vreg[194]
v_accvgpr_read_b32 v[vgprValuC+67], acc204 // copy acc to vreg[195]
v_accvgpr_read_b32 v[vgprValuC+68], acc193 // copy acc to vreg[196]
v_accvgpr_read_b32 v[vgprValuC+69], acc197 // copy acc to vreg[197]
v_accvgpr_read_b32 v[vgprValuC+70], acc201 // copy acc to vreg[198]
v_accvgpr_read_b32 v[vgprValuC+71], acc205 // copy acc to vreg[199]
v_accvgpr_read_b32 v[vgprValuC+76], acc194 // copy acc to vreg[200]
v_accvgpr_read_b32 v[vgprValuC+77], acc198 // copy acc to vreg[201]
v_accvgpr_read_b32 v[vgprValuC+78], acc202 // copy acc to vreg[202]
v_accvgpr_read_b32 v[vgprValuC+79], acc206 // copy acc to vreg[203]
v_accvgpr_read_b32 v[vgprValuC+80], acc195 // copy acc to vreg[204]
v_accvgpr_read_b32 v[vgprValuC+81], acc199 // copy acc to vreg[205]
v_accvgpr_read_b32 v[vgprValuC+82], acc203 // copy acc to vreg[206]
v_accvgpr_read_b32 v[vgprValuC+83], acc207 // copy acc to vreg[207]
v_accvgpr_read_b32 v[vgprValuC+88], acc208 // copy acc to vreg[208]
v_accvgpr_read_b32 v[vgprValuC+89], acc212 // copy acc to vreg[209]
v_accvgpr_read_b32 v[vgprValuC+90], acc216 // copy acc to vreg[210]
v_accvgpr_read_b32 v[vgprValuC+91], acc220 // copy acc to vreg[211]
v_accvgpr_read_b32 v[vgprValuC+92], acc209 // copy acc to vreg[212]
v_accvgpr_read_b32 v[vgprValuC+93], acc213 // copy acc to vreg[213]
v_accvgpr_read_b32 v[vgprValuC+94], acc217 // copy acc to vreg[214]
v_accvgpr_read_b32 v[vgprValuC+95], acc221 // copy acc to vreg[215]
v_accvgpr_read_b32 v[vgprValuC+100], acc210 // copy acc to vreg[216]
v_accvgpr_read_b32 v[vgprValuC+101], acc214 // copy acc to vreg[217]
v_accvgpr_read_b32 v[vgprValuC+102], acc218 // copy acc to vreg[218]
v_accvgpr_read_b32 v[vgprValuC+103], acc222 // copy acc to vreg[219]
v_accvgpr_read_b32 v[vgprValuC+104], acc211 // copy acc to vreg[220]
v_accvgpr_read_b32 v[vgprValuC+105], acc215 // copy acc to vreg[221]
v_accvgpr_read_b32 v[vgprValuC+106], acc219 // copy acc to vreg[222]
v_accvgpr_read_b32 v[vgprValuC+107], acc223 // copy acc to vreg[223]
s_nop 1                                            // 2 wait states required before reading vgpr

/* rC *= alpha batchElements=[(10, 0, 0, 0), (10, 0, 1, 0), (10, 0, 2, 0), (10, 0, 3, 0), (11, 0, 0, 0), (11, 0, 1, 0), (11, 0, 2, 0), (11, 0, 3, 0), (12, 0, 0, 0), (12, 0, 1, 0), (12, 0, 2, 0), (12, 0, 3, 0), (13, 0, 0, 0), (13, 0, 1, 0), (13, 0, 2, 0), (13, 0, 3, 0)] */
v_mul_f32 v[vgprValuC+16], s[sgprAlpha], v[vgprValuC+16] // *= alpha
v_mul_f32 v[vgprValuC+17], s[sgprAlpha], v[vgprValuC+17] // *= alpha
	;; [unrolled: 1-line block ×64, first 2 shown]

/* apply mask, calc new C and issue writes */
v_mov_b32 v7, 0xffff0000                           // mask for pack two bfloat16 element to 32bit
v_mov_b32 v8, 0x7fff0000                           // fp32 Nan
v_mov_b32 v9, 0x7fff                               // rounding bias for bfloat16

s_waitcnt vmcnt(15)                                // wait C (interleaved) 15 = 16 - 0 + 0 - 1
v_lshlrev_b32 v4, 16, v12                          // convert bf16 to fp32
_v_mac_f32 v[vgprValuC+16], v4, s[sgprBeta]        // finalSum = sum*alpha + C*beta
v_and_b32 v4, v12, v7                              // convert bf16 to fp32
_v_mac_f32 v[vgprValuC+17], v4, s[sgprBeta]        // finalSum = sum*alpha + C*beta
v_lshlrev_b32 v4, 16, v13                          // convert bf16 to fp32
_v_mac_f32 v[vgprValuC+18], v4, s[sgprBeta]        // finalSum = sum*alpha + C*beta
v_and_b32 v4, v13, v7                              // convert bf16 to fp32
_v_mac_f32 v[vgprValuC+19], v4, s[sgprBeta]        // finalSum = sum*alpha + C*beta
v_cmp_u_f32 s[54:55], v[vgprValuC+16], v[vgprValuC+16] // check Nan
v_bfe_u32 v6, v[vgprValuC+16], 16, 1               // Non-Nan case: store lsb of bf16
v_add3_u32 v6, v[vgprValuC+16], v6, v9             // Non-Nan case: add lsb and the increment for rounding
v_cndmask_b32 v[vgprValuC+16], v6, v8, s[54:55]    // 
v_lshrrev_b32 v[vgprValuC+16], 16, v[vgprValuC+16] // convert C to bf16
v_cmp_u_f32 s[54:55], v[vgprValuC+17], v[vgprValuC+17] // check Nan
v_bfe_u32 v6, v[vgprValuC+17], 16, 1               // Non-Nan case: store lsb of bf16
v_add3_u32 v6, v[vgprValuC+17], v6, v9             // Non-Nan case: add lsb and the increment for rounding
v_cndmask_b32 v[vgprValuC+17], v6, v8, s[54:55]    // 
v_and_or_b32 v16, v[vgprValuC+17], v7, v[vgprValuC+16] // pack two bf16 to dword
v_cmp_u_f32 s[54:55], v[vgprValuC+18], v[vgprValuC+18] // check Nan
v_bfe_u32 v6, v[vgprValuC+18], 16, 1               // Non-Nan case: store lsb of bf16
v_add3_u32 v6, v[vgprValuC+18], v6, v9             // Non-Nan case: add lsb and the increment for rounding
v_cndmask_b32 v[vgprValuC+18], v6, v8, s[54:55]    // 
v_lshrrev_b32 v[vgprValuC+18], 16, v[vgprValuC+18] // convert C to bf16
v_cmp_u_f32 s[54:55], v[vgprValuC+19], v[vgprValuC+19] // check Nan
v_bfe_u32 v6, v[vgprValuC+19], 16, 1               // Non-Nan case: store lsb of bf16
v_add3_u32 v6, v[vgprValuC+19], v6, v9             // Non-Nan case: add lsb and the increment for rounding
v_cndmask_b32 v[vgprValuC+19], v6, v8, s[54:55]    // 
v_and_or_b32 v17, v[vgprValuC+19], v7, v[vgprValuC+18] // pack two bf16 to dword
s_mul_i32 s54, s[sgprStrideD1J], 26                // scale StrideD *= numRows(13) * bpe
s_add_u32  s[sgprSrdD+0], s[sgprSrdD+0], s54       // incToNextRow: gra SRD += inc(lower)
s_addc_u32  s[sgprSrdD+1], s[sgprSrdD+1], 0        // incToNextRow: gra SRD += inc(upper)
_buffer_store_b64 v[16:17], v10, s[sgprSrdD:sgprSrdD+3], 0, offen, offset:0,  sc0 sc1 // store D

s_waitcnt vmcnt(15)                                // wait C (interleaved) 15 = 16 - 1 + 1 - 1
v_lshlrev_b32 v4, 16, v14                          // convert bf16 to fp32
_v_mac_f32 v[vgprValuC+20], v4, s[sgprBeta]        // finalSum = sum*alpha + C*beta
v_and_b32 v4, v14, v7                              // convert bf16 to fp32
_v_mac_f32 v[vgprValuC+21], v4, s[sgprBeta]        // finalSum = sum*alpha + C*beta
v_lshlrev_b32 v4, 16, v15                          // convert bf16 to fp32
_v_mac_f32 v[vgprValuC+22], v4, s[sgprBeta]        // finalSum = sum*alpha + C*beta
v_and_b32 v4, v15, v7                              // convert bf16 to fp32
_v_mac_f32 v[vgprValuC+23], v4, s[sgprBeta]        // finalSum = sum*alpha + C*beta
v_cmp_u_f32 s[54:55], v[vgprValuC+20], v[vgprValuC+20] // check Nan
v_bfe_u32 v6, v[vgprValuC+20], 16, 1               // Non-Nan case: store lsb of bf16
v_add3_u32 v6, v[vgprValuC+20], v6, v9             // Non-Nan case: add lsb and the increment for rounding
v_cndmask_b32 v[vgprValuC+20], v6, v8, s[54:55]    // 
v_lshrrev_b32 v[vgprValuC+20], 16, v[vgprValuC+20] // convert C to bf16
v_cmp_u_f32 s[54:55], v[vgprValuC+21], v[vgprValuC+21] // check Nan
v_bfe_u32 v6, v[vgprValuC+21], 16, 1               // Non-Nan case: store lsb of bf16
v_add3_u32 v6, v[vgprValuC+21], v6, v9             // Non-Nan case: add lsb and the increment for rounding
v_cndmask_b32 v[vgprValuC+21], v6, v8, s[54:55]    // 
v_and_or_b32 v20, v[vgprValuC+21], v7, v[vgprValuC+20] // pack two bf16 to dword
v_cmp_u_f32 s[54:55], v[vgprValuC+22], v[vgprValuC+22] // check Nan
v_bfe_u32 v6, v[vgprValuC+22], 16, 1               // Non-Nan case: store lsb of bf16
v_add3_u32 v6, v[vgprValuC+22], v6, v9             // Non-Nan case: add lsb and the increment for rounding
v_cndmask_b32 v[vgprValuC+22], v6, v8, s[54:55]    // 
v_lshrrev_b32 v[vgprValuC+22], 16, v[vgprValuC+22] // convert C to bf16
v_cmp_u_f32 s[54:55], v[vgprValuC+23], v[vgprValuC+23] // check Nan
v_bfe_u32 v6, v[vgprValuC+23], 16, 1               // Non-Nan case: store lsb of bf16
v_add3_u32 v6, v[vgprValuC+23], v6, v9             // Non-Nan case: add lsb and the increment for rounding
v_cndmask_b32 v[vgprValuC+23], v6, v8, s[54:55]    // 
v_and_or_b32 v21, v[vgprValuC+23], v7, v[vgprValuC+22] // pack two bf16 to dword
s_lshl_b32  s54, s[sgprStrideD1J], 1               // incToNextRow: Scale by BPE
s_add_u32  s[sgprSrdD+0], s[sgprSrdD+0], s54       // incToNextRow: gra SRD += inc(lower)
s_addc_u32  s[sgprSrdD+1], s[sgprSrdD+1], 0        // incToNextRow: gra SRD += inc(upper)
_buffer_store_b64 v[20:21], v10, s[sgprSrdD:sgprSrdD+3], 0, offen, offset:0,  sc0 sc1 // store D

s_waitcnt vmcnt(15)                                // wait C (interleaved) 15 = 16 - 2 + 2 - 1
v_lshlrev_b32 v4, 16, v24                          // convert bf16 to fp32
_v_mac_f32 v[vgprValuC+28], v4, s[sgprBeta]        // finalSum = sum*alpha + C*beta
v_and_b32 v4, v24, v7                              // convert bf16 to fp32
_v_mac_f32 v[vgprValuC+29], v4, s[sgprBeta]        // finalSum = sum*alpha + C*beta
v_lshlrev_b32 v4, 16, v25                          // convert bf16 to fp32
_v_mac_f32 v[vgprValuC+30], v4, s[sgprBeta]        // finalSum = sum*alpha + C*beta
v_and_b32 v4, v25, v7                              // convert bf16 to fp32
_v_mac_f32 v[vgprValuC+31], v4, s[sgprBeta]        // finalSum = sum*alpha + C*beta
v_cmp_u_f32 s[54:55], v[vgprValuC+28], v[vgprValuC+28] // check Nan
v_bfe_u32 v6, v[vgprValuC+28], 16, 1               // Non-Nan case: store lsb of bf16
v_add3_u32 v6, v[vgprValuC+28], v6, v9             // Non-Nan case: add lsb and the increment for rounding
v_cndmask_b32 v[vgprValuC+28], v6, v8, s[54:55]    // 
v_lshrrev_b32 v[vgprValuC+28], 16, v[vgprValuC+28] // convert C to bf16
v_cmp_u_f32 s[54:55], v[vgprValuC+29], v[vgprValuC+29] // check Nan
v_bfe_u32 v6, v[vgprValuC+29], 16, 1               // Non-Nan case: store lsb of bf16
v_add3_u32 v6, v[vgprValuC+29], v6, v9             // Non-Nan case: add lsb and the increment for rounding
v_cndmask_b32 v[vgprValuC+29], v6, v8, s[54:55]    // 
v_and_or_b32 v28, v[vgprValuC+29], v7, v[vgprValuC+28] // pack two bf16 to dword
v_cmp_u_f32 s[54:55], v[vgprValuC+30], v[vgprValuC+30] // check Nan
v_bfe_u32 v6, v[vgprValuC+30], 16, 1               // Non-Nan case: store lsb of bf16
v_add3_u32 v6, v[vgprValuC+30], v6, v9             // Non-Nan case: add lsb and the increment for rounding
v_cndmask_b32 v[vgprValuC+30], v6, v8, s[54:55]    // 
v_lshrrev_b32 v[vgprValuC+30], 16, v[vgprValuC+30] // convert C to bf16
v_cmp_u_f32 s[54:55], v[vgprValuC+31], v[vgprValuC+31] // check Nan
v_bfe_u32 v6, v[vgprValuC+31], 16, 1               // Non-Nan case: store lsb of bf16
v_add3_u32 v6, v[vgprValuC+31], v6, v9             // Non-Nan case: add lsb and the increment for rounding
v_cndmask_b32 v[vgprValuC+31], v6, v8, s[54:55]    // 
v_and_or_b32 v29, v[vgprValuC+31], v7, v[vgprValuC+30] // pack two bf16 to dword
s_lshl_b32  s54, s[sgprStrideD1J], 1               // incToNextRow: Scale by BPE
	;; [unrolled: 34-line block ×3, first 2 shown]
s_add_u32  s[sgprSrdD+0], s[sgprSrdD+0], s54       // incToNextRow: gra SRD += inc(lower)
s_addc_u32  s[sgprSrdD+1], s[sgprSrdD+1], 0        // incToNextRow: gra SRD += inc(upper)
_buffer_store_b64 v[32:33], v10, s[sgprSrdD:sgprSrdD+3], 0, offen, offset:0,  sc0 sc1 // store D

s_waitcnt vmcnt(15)                                // wait C (interleaved) 15 = 16 - 4 + 4 - 1
v_lshlrev_b32 v4, 16, v36                          // convert bf16 to fp32
_v_mac_f32 v[vgprValuC+40], v4, s[sgprBeta]        // finalSum = sum*alpha + C*beta
v_and_b32 v4, v36, v7                              // convert bf16 to fp32
_v_mac_f32 v[vgprValuC+41], v4, s[sgprBeta]        // finalSum = sum*alpha + C*beta
v_lshlrev_b32 v4, 16, v37                          // convert bf16 to fp32
_v_mac_f32 v[vgprValuC+42], v4, s[sgprBeta]        // finalSum = sum*alpha + C*beta
v_and_b32 v4, v37, v7                              // convert bf16 to fp32
_v_mac_f32 v[vgprValuC+43], v4, s[sgprBeta]        // finalSum = sum*alpha + C*beta
v_cmp_u_f32 s[54:55], v[vgprValuC+40], v[vgprValuC+40] // check Nan
v_bfe_u32 v6, v[vgprValuC+40], 16, 1               // Non-Nan case: store lsb of bf16
v_add3_u32 v6, v[vgprValuC+40], v6, v9             // Non-Nan case: add lsb and the increment for rounding
v_cndmask_b32 v[vgprValuC+40], v6, v8, s[54:55]    // 
v_lshrrev_b32 v[vgprValuC+40], 16, v[vgprValuC+40] // convert C to bf16
v_cmp_u_f32 s[54:55], v[vgprValuC+41], v[vgprValuC+41] // check Nan
v_bfe_u32 v6, v[vgprValuC+41], 16, 1               // Non-Nan case: store lsb of bf16
v_add3_u32 v6, v[vgprValuC+41], v6, v9             // Non-Nan case: add lsb and the increment for rounding
v_cndmask_b32 v[vgprValuC+41], v6, v8, s[54:55]    // 
v_and_or_b32 v40, v[vgprValuC+41], v7, v[vgprValuC+40] // pack two bf16 to dword
v_cmp_u_f32 s[54:55], v[vgprValuC+42], v[vgprValuC+42] // check Nan
v_bfe_u32 v6, v[vgprValuC+42], 16, 1               // Non-Nan case: store lsb of bf16
v_add3_u32 v6, v[vgprValuC+42], v6, v9             // Non-Nan case: add lsb and the increment for rounding
v_cndmask_b32 v[vgprValuC+42], v6, v8, s[54:55]    // 
v_lshrrev_b32 v[vgprValuC+42], 16, v[vgprValuC+42] // convert C to bf16
v_cmp_u_f32 s[54:55], v[vgprValuC+43], v[vgprValuC+43] // check Nan
v_bfe_u32 v6, v[vgprValuC+43], 16, 1               // Non-Nan case: store lsb of bf16
v_add3_u32 v6, v[vgprValuC+43], v6, v9             // Non-Nan case: add lsb and the increment for rounding
v_cndmask_b32 v[vgprValuC+43], v6, v8, s[54:55]    // 
v_and_or_b32 v41, v[vgprValuC+43], v7, v[vgprValuC+42] // pack two bf16 to dword
s_mul_i32 s54, s[sgprStrideD1J], 26                // scale StrideD *= numRows(13) * bpe
s_add_u32  s[sgprSrdD+0], s[sgprSrdD+0], s54       // incToNextRow: gra SRD += inc(lower)
s_addc_u32  s[sgprSrdD+1], s[sgprSrdD+1], 0        // incToNextRow: gra SRD += inc(upper)
_buffer_store_b64 v[40:41], v10, s[sgprSrdD:sgprSrdD+3], 0, offen, offset:0,  sc0 sc1 // store D

s_waitcnt vmcnt(15)                                // wait C (interleaved) 15 = 16 - 5 + 5 - 1
v_lshlrev_b32 v4, 16, v38                          // convert bf16 to fp32
_v_mac_f32 v[vgprValuC+44], v4, s[sgprBeta]        // finalSum = sum*alpha + C*beta
v_and_b32 v4, v38, v7                              // convert bf16 to fp32
_v_mac_f32 v[vgprValuC+45], v4, s[sgprBeta]        // finalSum = sum*alpha + C*beta
v_lshlrev_b32 v4, 16, v39                          // convert bf16 to fp32
_v_mac_f32 v[vgprValuC+46], v4, s[sgprBeta]        // finalSum = sum*alpha + C*beta
v_and_b32 v4, v39, v7                              // convert bf16 to fp32
_v_mac_f32 v[vgprValuC+47], v4, s[sgprBeta]        // finalSum = sum*alpha + C*beta
v_cmp_u_f32 s[54:55], v[vgprValuC+44], v[vgprValuC+44] // check Nan
v_bfe_u32 v6, v[vgprValuC+44], 16, 1               // Non-Nan case: store lsb of bf16
v_add3_u32 v6, v[vgprValuC+44], v6, v9             // Non-Nan case: add lsb and the increment for rounding
v_cndmask_b32 v[vgprValuC+44], v6, v8, s[54:55]    // 
v_lshrrev_b32 v[vgprValuC+44], 16, v[vgprValuC+44] // convert C to bf16
v_cmp_u_f32 s[54:55], v[vgprValuC+45], v[vgprValuC+45] // check Nan
v_bfe_u32 v6, v[vgprValuC+45], 16, 1               // Non-Nan case: store lsb of bf16
v_add3_u32 v6, v[vgprValuC+45], v6, v9             // Non-Nan case: add lsb and the increment for rounding
v_cndmask_b32 v[vgprValuC+45], v6, v8, s[54:55]    // 
v_and_or_b32 v44, v[vgprValuC+45], v7, v[vgprValuC+44] // pack two bf16 to dword
v_cmp_u_f32 s[54:55], v[vgprValuC+46], v[vgprValuC+46] // check Nan
v_bfe_u32 v6, v[vgprValuC+46], 16, 1               // Non-Nan case: store lsb of bf16
v_add3_u32 v6, v[vgprValuC+46], v6, v9             // Non-Nan case: add lsb and the increment for rounding
v_cndmask_b32 v[vgprValuC+46], v6, v8, s[54:55]    // 
v_lshrrev_b32 v[vgprValuC+46], 16, v[vgprValuC+46] // convert C to bf16
v_cmp_u_f32 s[54:55], v[vgprValuC+47], v[vgprValuC+47] // check Nan
v_bfe_u32 v6, v[vgprValuC+47], 16, 1               // Non-Nan case: store lsb of bf16
v_add3_u32 v6, v[vgprValuC+47], v6, v9             // Non-Nan case: add lsb and the increment for rounding
v_cndmask_b32 v[vgprValuC+47], v6, v8, s[54:55]    // 
v_and_or_b32 v45, v[vgprValuC+47], v7, v[vgprValuC+46] // pack two bf16 to dword
s_lshl_b32  s54, s[sgprStrideD1J], 1               // incToNextRow: Scale by BPE
s_add_u32  s[sgprSrdD+0], s[sgprSrdD+0], s54       // incToNextRow: gra SRD += inc(lower)
s_addc_u32  s[sgprSrdD+1], s[sgprSrdD+1], 0        // incToNextRow: gra SRD += inc(upper)
_buffer_store_b64 v[44:45], v10, s[sgprSrdD:sgprSrdD+3], 0, offen, offset:0,  sc0 sc1 // store D

s_waitcnt vmcnt(15)                                // wait C (interleaved) 15 = 16 - 6 + 6 - 1
v_lshlrev_b32 v4, 16, v48                          // convert bf16 to fp32
_v_mac_f32 v[vgprValuC+52], v4, s[sgprBeta]        // finalSum = sum*alpha + C*beta
v_and_b32 v4, v48, v7                              // convert bf16 to fp32
_v_mac_f32 v[vgprValuC+53], v4, s[sgprBeta]        // finalSum = sum*alpha + C*beta
v_lshlrev_b32 v4, 16, v49                          // convert bf16 to fp32
_v_mac_f32 v[vgprValuC+54], v4, s[sgprBeta]        // finalSum = sum*alpha + C*beta
v_and_b32 v4, v49, v7                              // convert bf16 to fp32
_v_mac_f32 v[vgprValuC+55], v4, s[sgprBeta]        // finalSum = sum*alpha + C*beta
v_cmp_u_f32 s[54:55], v[vgprValuC+52], v[vgprValuC+52] // check Nan
v_bfe_u32 v6, v[vgprValuC+52], 16, 1               // Non-Nan case: store lsb of bf16
v_add3_u32 v6, v[vgprValuC+52], v6, v9             // Non-Nan case: add lsb and the increment for rounding
v_cndmask_b32 v[vgprValuC+52], v6, v8, s[54:55]    // 
v_lshrrev_b32 v[vgprValuC+52], 16, v[vgprValuC+52] // convert C to bf16
v_cmp_u_f32 s[54:55], v[vgprValuC+53], v[vgprValuC+53] // check Nan
v_bfe_u32 v6, v[vgprValuC+53], 16, 1               // Non-Nan case: store lsb of bf16
v_add3_u32 v6, v[vgprValuC+53], v6, v9             // Non-Nan case: add lsb and the increment for rounding
v_cndmask_b32 v[vgprValuC+53], v6, v8, s[54:55]    // 
v_and_or_b32 v52, v[vgprValuC+53], v7, v[vgprValuC+52] // pack two bf16 to dword
v_cmp_u_f32 s[54:55], v[vgprValuC+54], v[vgprValuC+54] // check Nan
v_bfe_u32 v6, v[vgprValuC+54], 16, 1               // Non-Nan case: store lsb of bf16
v_add3_u32 v6, v[vgprValuC+54], v6, v9             // Non-Nan case: add lsb and the increment for rounding
v_cndmask_b32 v[vgprValuC+54], v6, v8, s[54:55]    // 
v_lshrrev_b32 v[vgprValuC+54], 16, v[vgprValuC+54] // convert C to bf16
v_cmp_u_f32 s[54:55], v[vgprValuC+55], v[vgprValuC+55] // check Nan
v_bfe_u32 v6, v[vgprValuC+55], 16, 1               // Non-Nan case: store lsb of bf16
v_add3_u32 v6, v[vgprValuC+55], v6, v9             // Non-Nan case: add lsb and the increment for rounding
v_cndmask_b32 v[vgprValuC+55], v6, v8, s[54:55]    // 
v_and_or_b32 v53, v[vgprValuC+55], v7, v[vgprValuC+54] // pack two bf16 to dword
s_lshl_b32  s54, s[sgprStrideD1J], 1               // incToNextRow: Scale by BPE
	;; [unrolled: 34-line block ×3, first 2 shown]
s_add_u32  s[sgprSrdD+0], s[sgprSrdD+0], s54       // incToNextRow: gra SRD += inc(lower)
s_addc_u32  s[sgprSrdD+1], s[sgprSrdD+1], 0        // incToNextRow: gra SRD += inc(upper)
_buffer_store_b64 v[56:57], v10, s[sgprSrdD:sgprSrdD+3], 0, offen, offset:0,  sc0 sc1 // store D

s_waitcnt vmcnt(15)                                // wait C (interleaved) 15 = 16 - 8 + 8 - 1
v_lshlrev_b32 v4, 16, v60                          // convert bf16 to fp32
_v_mac_f32 v[vgprValuC+64], v4, s[sgprBeta]        // finalSum = sum*alpha + C*beta
v_and_b32 v4, v60, v7                              // convert bf16 to fp32
_v_mac_f32 v[vgprValuC+65], v4, s[sgprBeta]        // finalSum = sum*alpha + C*beta
v_lshlrev_b32 v4, 16, v61                          // convert bf16 to fp32
_v_mac_f32 v[vgprValuC+66], v4, s[sgprBeta]        // finalSum = sum*alpha + C*beta
v_and_b32 v4, v61, v7                              // convert bf16 to fp32
_v_mac_f32 v[vgprValuC+67], v4, s[sgprBeta]        // finalSum = sum*alpha + C*beta
v_cmp_u_f32 s[54:55], v[vgprValuC+64], v[vgprValuC+64] // check Nan
v_bfe_u32 v6, v[vgprValuC+64], 16, 1               // Non-Nan case: store lsb of bf16
v_add3_u32 v6, v[vgprValuC+64], v6, v9             // Non-Nan case: add lsb and the increment for rounding
v_cndmask_b32 v[vgprValuC+64], v6, v8, s[54:55]    // 
v_lshrrev_b32 v[vgprValuC+64], 16, v[vgprValuC+64] // convert C to bf16
v_cmp_u_f32 s[54:55], v[vgprValuC+65], v[vgprValuC+65] // check Nan
v_bfe_u32 v6, v[vgprValuC+65], 16, 1               // Non-Nan case: store lsb of bf16
v_add3_u32 v6, v[vgprValuC+65], v6, v9             // Non-Nan case: add lsb and the increment for rounding
v_cndmask_b32 v[vgprValuC+65], v6, v8, s[54:55]    // 
v_and_or_b32 v64, v[vgprValuC+65], v7, v[vgprValuC+64] // pack two bf16 to dword
v_cmp_u_f32 s[54:55], v[vgprValuC+66], v[vgprValuC+66] // check Nan
v_bfe_u32 v6, v[vgprValuC+66], 16, 1               // Non-Nan case: store lsb of bf16
v_add3_u32 v6, v[vgprValuC+66], v6, v9             // Non-Nan case: add lsb and the increment for rounding
v_cndmask_b32 v[vgprValuC+66], v6, v8, s[54:55]    // 
v_lshrrev_b32 v[vgprValuC+66], 16, v[vgprValuC+66] // convert C to bf16
v_cmp_u_f32 s[54:55], v[vgprValuC+67], v[vgprValuC+67] // check Nan
v_bfe_u32 v6, v[vgprValuC+67], 16, 1               // Non-Nan case: store lsb of bf16
v_add3_u32 v6, v[vgprValuC+67], v6, v9             // Non-Nan case: add lsb and the increment for rounding
v_cndmask_b32 v[vgprValuC+67], v6, v8, s[54:55]    // 
v_and_or_b32 v65, v[vgprValuC+67], v7, v[vgprValuC+66] // pack two bf16 to dword
s_mul_i32 s54, s[sgprStrideD1J], 26                // scale StrideD *= numRows(13) * bpe
s_add_u32  s[sgprSrdD+0], s[sgprSrdD+0], s54       // incToNextRow: gra SRD += inc(lower)
s_addc_u32  s[sgprSrdD+1], s[sgprSrdD+1], 0        // incToNextRow: gra SRD += inc(upper)
_buffer_store_b64 v[64:65], v10, s[sgprSrdD:sgprSrdD+3], 0, offen, offset:0,  sc0 sc1 // store D

s_waitcnt vmcnt(15)                                // wait C (interleaved) 15 = 16 - 9 + 9 - 1
v_lshlrev_b32 v4, 16, v62                          // convert bf16 to fp32
_v_mac_f32 v[vgprValuC+68], v4, s[sgprBeta]        // finalSum = sum*alpha + C*beta
v_and_b32 v4, v62, v7                              // convert bf16 to fp32
_v_mac_f32 v[vgprValuC+69], v4, s[sgprBeta]        // finalSum = sum*alpha + C*beta
v_lshlrev_b32 v4, 16, v63                          // convert bf16 to fp32
_v_mac_f32 v[vgprValuC+70], v4, s[sgprBeta]        // finalSum = sum*alpha + C*beta
v_and_b32 v4, v63, v7                              // convert bf16 to fp32
_v_mac_f32 v[vgprValuC+71], v4, s[sgprBeta]        // finalSum = sum*alpha + C*beta
v_cmp_u_f32 s[54:55], v[vgprValuC+68], v[vgprValuC+68] // check Nan
v_bfe_u32 v6, v[vgprValuC+68], 16, 1               // Non-Nan case: store lsb of bf16
v_add3_u32 v6, v[vgprValuC+68], v6, v9             // Non-Nan case: add lsb and the increment for rounding
v_cndmask_b32 v[vgprValuC+68], v6, v8, s[54:55]    // 
v_lshrrev_b32 v[vgprValuC+68], 16, v[vgprValuC+68] // convert C to bf16
v_cmp_u_f32 s[54:55], v[vgprValuC+69], v[vgprValuC+69] // check Nan
v_bfe_u32 v6, v[vgprValuC+69], 16, 1               // Non-Nan case: store lsb of bf16
v_add3_u32 v6, v[vgprValuC+69], v6, v9             // Non-Nan case: add lsb and the increment for rounding
v_cndmask_b32 v[vgprValuC+69], v6, v8, s[54:55]    // 
v_and_or_b32 v68, v[vgprValuC+69], v7, v[vgprValuC+68] // pack two bf16 to dword
v_cmp_u_f32 s[54:55], v[vgprValuC+70], v[vgprValuC+70] // check Nan
v_bfe_u32 v6, v[vgprValuC+70], 16, 1               // Non-Nan case: store lsb of bf16
v_add3_u32 v6, v[vgprValuC+70], v6, v9             // Non-Nan case: add lsb and the increment for rounding
v_cndmask_b32 v[vgprValuC+70], v6, v8, s[54:55]    // 
v_lshrrev_b32 v[vgprValuC+70], 16, v[vgprValuC+70] // convert C to bf16
v_cmp_u_f32 s[54:55], v[vgprValuC+71], v[vgprValuC+71] // check Nan
v_bfe_u32 v6, v[vgprValuC+71], 16, 1               // Non-Nan case: store lsb of bf16
v_add3_u32 v6, v[vgprValuC+71], v6, v9             // Non-Nan case: add lsb and the increment for rounding
v_cndmask_b32 v[vgprValuC+71], v6, v8, s[54:55]    // 
v_and_or_b32 v69, v[vgprValuC+71], v7, v[vgprValuC+70] // pack two bf16 to dword
s_lshl_b32  s54, s[sgprStrideD1J], 1               // incToNextRow: Scale by BPE
s_add_u32  s[sgprSrdD+0], s[sgprSrdD+0], s54       // incToNextRow: gra SRD += inc(lower)
s_addc_u32  s[sgprSrdD+1], s[sgprSrdD+1], 0        // incToNextRow: gra SRD += inc(upper)
_buffer_store_b64 v[68:69], v10, s[sgprSrdD:sgprSrdD+3], 0, offen, offset:0,  sc0 sc1 // store D

s_waitcnt vmcnt(15)                                // wait C (interleaved) 15 = 16 - 10 + 10 - 1
v_lshlrev_b32 v4, 16, v72                          // convert bf16 to fp32
_v_mac_f32 v[vgprValuC+76], v4, s[sgprBeta]        // finalSum = sum*alpha + C*beta
v_and_b32 v4, v72, v7                              // convert bf16 to fp32
_v_mac_f32 v[vgprValuC+77], v4, s[sgprBeta]        // finalSum = sum*alpha + C*beta
v_lshlrev_b32 v4, 16, v73                          // convert bf16 to fp32
_v_mac_f32 v[vgprValuC+78], v4, s[sgprBeta]        // finalSum = sum*alpha + C*beta
v_and_b32 v4, v73, v7                              // convert bf16 to fp32
_v_mac_f32 v[vgprValuC+79], v4, s[sgprBeta]        // finalSum = sum*alpha + C*beta
v_cmp_u_f32 s[54:55], v[vgprValuC+76], v[vgprValuC+76] // check Nan
v_bfe_u32 v6, v[vgprValuC+76], 16, 1               // Non-Nan case: store lsb of bf16
v_add3_u32 v6, v[vgprValuC+76], v6, v9             // Non-Nan case: add lsb and the increment for rounding
v_cndmask_b32 v[vgprValuC+76], v6, v8, s[54:55]    // 
v_lshrrev_b32 v[vgprValuC+76], 16, v[vgprValuC+76] // convert C to bf16
v_cmp_u_f32 s[54:55], v[vgprValuC+77], v[vgprValuC+77] // check Nan
v_bfe_u32 v6, v[vgprValuC+77], 16, 1               // Non-Nan case: store lsb of bf16
v_add3_u32 v6, v[vgprValuC+77], v6, v9             // Non-Nan case: add lsb and the increment for rounding
v_cndmask_b32 v[vgprValuC+77], v6, v8, s[54:55]    // 
v_and_or_b32 v76, v[vgprValuC+77], v7, v[vgprValuC+76] // pack two bf16 to dword
v_cmp_u_f32 s[54:55], v[vgprValuC+78], v[vgprValuC+78] // check Nan
v_bfe_u32 v6, v[vgprValuC+78], 16, 1               // Non-Nan case: store lsb of bf16
v_add3_u32 v6, v[vgprValuC+78], v6, v9             // Non-Nan case: add lsb and the increment for rounding
v_cndmask_b32 v[vgprValuC+78], v6, v8, s[54:55]    // 
v_lshrrev_b32 v[vgprValuC+78], 16, v[vgprValuC+78] // convert C to bf16
v_cmp_u_f32 s[54:55], v[vgprValuC+79], v[vgprValuC+79] // check Nan
v_bfe_u32 v6, v[vgprValuC+79], 16, 1               // Non-Nan case: store lsb of bf16
v_add3_u32 v6, v[vgprValuC+79], v6, v9             // Non-Nan case: add lsb and the increment for rounding
v_cndmask_b32 v[vgprValuC+79], v6, v8, s[54:55]    // 
v_and_or_b32 v77, v[vgprValuC+79], v7, v[vgprValuC+78] // pack two bf16 to dword
s_lshl_b32  s54, s[sgprStrideD1J], 1               // incToNextRow: Scale by BPE
	;; [unrolled: 34-line block ×3, first 2 shown]
s_add_u32  s[sgprSrdD+0], s[sgprSrdD+0], s54       // incToNextRow: gra SRD += inc(lower)
s_addc_u32  s[sgprSrdD+1], s[sgprSrdD+1], 0        // incToNextRow: gra SRD += inc(upper)
_buffer_store_b64 v[80:81], v10, s[sgprSrdD:sgprSrdD+3], 0, offen, offset:0,  sc0 sc1 // store D

s_waitcnt vmcnt(15)                                // wait C (interleaved) 15 = 16 - 12 + 12 - 1
v_lshlrev_b32 v4, 16, v84                          // convert bf16 to fp32
_v_mac_f32 v[vgprValuC+88], v4, s[sgprBeta]        // finalSum = sum*alpha + C*beta
v_and_b32 v4, v84, v7                              // convert bf16 to fp32
_v_mac_f32 v[vgprValuC+89], v4, s[sgprBeta]        // finalSum = sum*alpha + C*beta
v_lshlrev_b32 v4, 16, v85                          // convert bf16 to fp32
_v_mac_f32 v[vgprValuC+90], v4, s[sgprBeta]        // finalSum = sum*alpha + C*beta
v_and_b32 v4, v85, v7                              // convert bf16 to fp32
_v_mac_f32 v[vgprValuC+91], v4, s[sgprBeta]        // finalSum = sum*alpha + C*beta
v_cmp_u_f32 s[54:55], v[vgprValuC+88], v[vgprValuC+88] // check Nan
v_bfe_u32 v6, v[vgprValuC+88], 16, 1               // Non-Nan case: store lsb of bf16
v_add3_u32 v6, v[vgprValuC+88], v6, v9             // Non-Nan case: add lsb and the increment for rounding
v_cndmask_b32 v[vgprValuC+88], v6, v8, s[54:55]    // 
v_lshrrev_b32 v[vgprValuC+88], 16, v[vgprValuC+88] // convert C to bf16
v_cmp_u_f32 s[54:55], v[vgprValuC+89], v[vgprValuC+89] // check Nan
v_bfe_u32 v6, v[vgprValuC+89], 16, 1               // Non-Nan case: store lsb of bf16
v_add3_u32 v6, v[vgprValuC+89], v6, v9             // Non-Nan case: add lsb and the increment for rounding
v_cndmask_b32 v[vgprValuC+89], v6, v8, s[54:55]    // 
v_and_or_b32 v88, v[vgprValuC+89], v7, v[vgprValuC+88] // pack two bf16 to dword
v_cmp_u_f32 s[54:55], v[vgprValuC+90], v[vgprValuC+90] // check Nan
v_bfe_u32 v6, v[vgprValuC+90], 16, 1               // Non-Nan case: store lsb of bf16
v_add3_u32 v6, v[vgprValuC+90], v6, v9             // Non-Nan case: add lsb and the increment for rounding
v_cndmask_b32 v[vgprValuC+90], v6, v8, s[54:55]    // 
v_lshrrev_b32 v[vgprValuC+90], 16, v[vgprValuC+90] // convert C to bf16
v_cmp_u_f32 s[54:55], v[vgprValuC+91], v[vgprValuC+91] // check Nan
v_bfe_u32 v6, v[vgprValuC+91], 16, 1               // Non-Nan case: store lsb of bf16
v_add3_u32 v6, v[vgprValuC+91], v6, v9             // Non-Nan case: add lsb and the increment for rounding
v_cndmask_b32 v[vgprValuC+91], v6, v8, s[54:55]    // 
v_and_or_b32 v89, v[vgprValuC+91], v7, v[vgprValuC+90] // pack two bf16 to dword
s_mul_i32 s54, s[sgprStrideD1J], 26                // scale StrideD *= numRows(13) * bpe
s_add_u32  s[sgprSrdD+0], s[sgprSrdD+0], s54       // incToNextRow: gra SRD += inc(lower)
s_addc_u32  s[sgprSrdD+1], s[sgprSrdD+1], 0        // incToNextRow: gra SRD += inc(upper)
_buffer_store_b64 v[88:89], v10, s[sgprSrdD:sgprSrdD+3], 0, offen, offset:0,  sc0 sc1 // store D

s_waitcnt vmcnt(15)                                // wait C (interleaved) 15 = 16 - 13 + 13 - 1
v_lshlrev_b32 v4, 16, v86                          // convert bf16 to fp32
_v_mac_f32 v[vgprValuC+92], v4, s[sgprBeta]        // finalSum = sum*alpha + C*beta
v_and_b32 v4, v86, v7                              // convert bf16 to fp32
_v_mac_f32 v[vgprValuC+93], v4, s[sgprBeta]        // finalSum = sum*alpha + C*beta
v_lshlrev_b32 v4, 16, v87                          // convert bf16 to fp32
_v_mac_f32 v[vgprValuC+94], v4, s[sgprBeta]        // finalSum = sum*alpha + C*beta
v_and_b32 v4, v87, v7                              // convert bf16 to fp32
_v_mac_f32 v[vgprValuC+95], v4, s[sgprBeta]        // finalSum = sum*alpha + C*beta
v_cmp_u_f32 s[54:55], v[vgprValuC+92], v[vgprValuC+92] // check Nan
v_bfe_u32 v6, v[vgprValuC+92], 16, 1               // Non-Nan case: store lsb of bf16
v_add3_u32 v6, v[vgprValuC+92], v6, v9             // Non-Nan case: add lsb and the increment for rounding
v_cndmask_b32 v[vgprValuC+92], v6, v8, s[54:55]    // 
v_lshrrev_b32 v[vgprValuC+92], 16, v[vgprValuC+92] // convert C to bf16
v_cmp_u_f32 s[54:55], v[vgprValuC+93], v[vgprValuC+93] // check Nan
v_bfe_u32 v6, v[vgprValuC+93], 16, 1               // Non-Nan case: store lsb of bf16
v_add3_u32 v6, v[vgprValuC+93], v6, v9             // Non-Nan case: add lsb and the increment for rounding
v_cndmask_b32 v[vgprValuC+93], v6, v8, s[54:55]    // 
v_and_or_b32 v92, v[vgprValuC+93], v7, v[vgprValuC+92] // pack two bf16 to dword
v_cmp_u_f32 s[54:55], v[vgprValuC+94], v[vgprValuC+94] // check Nan
v_bfe_u32 v6, v[vgprValuC+94], 16, 1               // Non-Nan case: store lsb of bf16
v_add3_u32 v6, v[vgprValuC+94], v6, v9             // Non-Nan case: add lsb and the increment for rounding
v_cndmask_b32 v[vgprValuC+94], v6, v8, s[54:55]    // 
v_lshrrev_b32 v[vgprValuC+94], 16, v[vgprValuC+94] // convert C to bf16
v_cmp_u_f32 s[54:55], v[vgprValuC+95], v[vgprValuC+95] // check Nan
v_bfe_u32 v6, v[vgprValuC+95], 16, 1               // Non-Nan case: store lsb of bf16
v_add3_u32 v6, v[vgprValuC+95], v6, v9             // Non-Nan case: add lsb and the increment for rounding
v_cndmask_b32 v[vgprValuC+95], v6, v8, s[54:55]    // 
v_and_or_b32 v93, v[vgprValuC+95], v7, v[vgprValuC+94] // pack two bf16 to dword
s_lshl_b32  s54, s[sgprStrideD1J], 1               // incToNextRow: Scale by BPE
s_add_u32  s[sgprSrdD+0], s[sgprSrdD+0], s54       // incToNextRow: gra SRD += inc(lower)
s_addc_u32  s[sgprSrdD+1], s[sgprSrdD+1], 0        // incToNextRow: gra SRD += inc(upper)
_buffer_store_b64 v[92:93], v10, s[sgprSrdD:sgprSrdD+3], 0, offen, offset:0,  sc0 sc1 // store D

s_waitcnt vmcnt(15)                                // wait C (interleaved) 15 = 16 - 14 + 14 - 1
v_lshlrev_b32 v4, 16, v96                          // convert bf16 to fp32
_v_mac_f32 v[vgprValuC+100], v4, s[sgprBeta]       // finalSum = sum*alpha + C*beta
v_and_b32 v4, v96, v7                              // convert bf16 to fp32
_v_mac_f32 v[vgprValuC+101], v4, s[sgprBeta]       // finalSum = sum*alpha + C*beta
v_lshlrev_b32 v4, 16, v97                          // convert bf16 to fp32
_v_mac_f32 v[vgprValuC+102], v4, s[sgprBeta]       // finalSum = sum*alpha + C*beta
v_and_b32 v4, v97, v7                              // convert bf16 to fp32
_v_mac_f32 v[vgprValuC+103], v4, s[sgprBeta]       // finalSum = sum*alpha + C*beta
v_cmp_u_f32 s[54:55], v[vgprValuC+100], v[vgprValuC+100] // check Nan
v_bfe_u32 v6, v[vgprValuC+100], 16, 1              // Non-Nan case: store lsb of bf16
v_add3_u32 v6, v[vgprValuC+100], v6, v9            // Non-Nan case: add lsb and the increment for rounding
v_cndmask_b32 v[vgprValuC+100], v6, v8, s[54:55]   // 
v_lshrrev_b32 v[vgprValuC+100], 16, v[vgprValuC+100] // convert C to bf16
v_cmp_u_f32 s[54:55], v[vgprValuC+101], v[vgprValuC+101] // check Nan
v_bfe_u32 v6, v[vgprValuC+101], 16, 1              // Non-Nan case: store lsb of bf16
v_add3_u32 v6, v[vgprValuC+101], v6, v9            // Non-Nan case: add lsb and the increment for rounding
v_cndmask_b32 v[vgprValuC+101], v6, v8, s[54:55]   // 
v_and_or_b32 v100, v[vgprValuC+101], v7, v[vgprValuC+100] // pack two bf16 to dword
v_cmp_u_f32 s[54:55], v[vgprValuC+102], v[vgprValuC+102] // check Nan
v_bfe_u32 v6, v[vgprValuC+102], 16, 1              // Non-Nan case: store lsb of bf16
v_add3_u32 v6, v[vgprValuC+102], v6, v9            // Non-Nan case: add lsb and the increment for rounding
v_cndmask_b32 v[vgprValuC+102], v6, v8, s[54:55]   // 
v_lshrrev_b32 v[vgprValuC+102], 16, v[vgprValuC+102] // convert C to bf16
v_cmp_u_f32 s[54:55], v[vgprValuC+103], v[vgprValuC+103] // check Nan
v_bfe_u32 v6, v[vgprValuC+103], 16, 1              // Non-Nan case: store lsb of bf16
v_add3_u32 v6, v[vgprValuC+103], v6, v9            // Non-Nan case: add lsb and the increment for rounding
v_cndmask_b32 v[vgprValuC+103], v6, v8, s[54:55]   // 
v_and_or_b32 v101, v[vgprValuC+103], v7, v[vgprValuC+102] // pack two bf16 to dword
s_lshl_b32  s54, s[sgprStrideD1J], 1               // incToNextRow: Scale by BPE
s_add_u32  s[sgprSrdD+0], s[sgprSrdD+0], s54       // incToNextRow: gra SRD += inc(lower)
s_addc_u32  s[sgprSrdD+1], s[sgprSrdD+1], 0        // incToNextRow: gra SRD += inc(upper)
_buffer_store_b64 v[100:101], v10, s[sgprSrdD:sgprSrdD+3], 0, offen, offset:0,  sc0 sc1 // store D

s_waitcnt vmcnt(15)                                // wait C (interleaved) 15 = 16 - 15 + 15 - 1
v_lshlrev_b32 v4, 16, v98                          // convert bf16 to fp32
_v_mac_f32 v[vgprValuC+104], v4, s[sgprBeta]       // finalSum = sum*alpha + C*beta
v_and_b32 v4, v98, v7                              // convert bf16 to fp32
_v_mac_f32 v[vgprValuC+105], v4, s[sgprBeta]       // finalSum = sum*alpha + C*beta
v_lshlrev_b32 v4, 16, v99                          // convert bf16 to fp32
_v_mac_f32 v[vgprValuC+106], v4, s[sgprBeta]       // finalSum = sum*alpha + C*beta
v_and_b32 v4, v99, v7                              // convert bf16 to fp32
_v_mac_f32 v[vgprValuC+107], v4, s[sgprBeta]       // finalSum = sum*alpha + C*beta
v_cmp_u_f32 s[54:55], v[vgprValuC+104], v[vgprValuC+104] // check Nan
v_bfe_u32 v6, v[vgprValuC+104], 16, 1              // Non-Nan case: store lsb of bf16
v_add3_u32 v6, v[vgprValuC+104], v6, v9            // Non-Nan case: add lsb and the increment for rounding
v_cndmask_b32 v[vgprValuC+104], v6, v8, s[54:55]   // 
v_lshrrev_b32 v[vgprValuC+104], 16, v[vgprValuC+104] // convert C to bf16
v_cmp_u_f32 s[54:55], v[vgprValuC+105], v[vgprValuC+105] // check Nan
v_bfe_u32 v6, v[vgprValuC+105], 16, 1              // Non-Nan case: store lsb of bf16
v_add3_u32 v6, v[vgprValuC+105], v6, v9            // Non-Nan case: add lsb and the increment for rounding
v_cndmask_b32 v[vgprValuC+105], v6, v8, s[54:55]   // 
v_and_or_b32 v104, v[vgprValuC+105], v7, v[vgprValuC+104] // pack two bf16 to dword
v_cmp_u_f32 s[54:55], v[vgprValuC+106], v[vgprValuC+106] // check Nan
v_bfe_u32 v6, v[vgprValuC+106], 16, 1              // Non-Nan case: store lsb of bf16
v_add3_u32 v6, v[vgprValuC+106], v6, v9            // Non-Nan case: add lsb and the increment for rounding
v_cndmask_b32 v[vgprValuC+106], v6, v8, s[54:55]   // 
v_lshrrev_b32 v[vgprValuC+106], 16, v[vgprValuC+106] // convert C to bf16
v_cmp_u_f32 s[54:55], v[vgprValuC+107], v[vgprValuC+107] // check Nan
v_bfe_u32 v6, v[vgprValuC+107], 16, 1              // Non-Nan case: store lsb of bf16
v_add3_u32 v6, v[vgprValuC+107], v6, v9            // Non-Nan case: add lsb and the increment for rounding
v_cndmask_b32 v[vgprValuC+107], v6, v8, s[54:55]   // 
v_and_or_b32 v105, v[vgprValuC+107], v7, v[vgprValuC+106] // pack two bf16 to dword
s_lshl_b32  s54, s[sgprStrideD1J], 1               // incToNextRow: Scale by BPE
s_add_u32  s[sgprSrdD+0], s[sgprSrdD+0], s54       // incToNextRow: gra SRD += inc(lower)
s_addc_u32  s[sgprSrdD+1], s[sgprSrdD+1], 0        // incToNextRow: gra SRD += inc(upper)
_buffer_store_b64 v[104:105], v10, s[sgprSrdD:sgprSrdD+3], 0, offen, offset:0,  sc0 sc1 // store D
s_nop 0                                            // 1 wait state required when next inst writes vgprs held by previous dwordx4 store inst
s_branch label_GW_End_42                           // jump to end
GW_B1_E1_41:

/* edge=1, allocate 6 sgpr. perBatchTmpS=4 perBatchMaskS=2 perElementMaskS=0 elementsPerBatch=32 */
/* optSingleColVgpr=0 optSharedColVgpr=0 optSGPRUsage=BufferLoad_Edge_Mask optSrdIncForRow=0 */

/******************************************/
/* Global Write Alpha Beta Edge Batch #0 (d1,d0,vc1,vc0) = */
/*    (0,0,0,0:vw4); (0,0,1,0:vw4); (0,0,2,0:vw4); (0,0,3,0:vw4); (1,0,0,0:vw4); (1,0,1,0:vw4); (1,0,2,0:vw4); (1,0,3,0:vw4); (2,0,0,0:vw4); (2,0,1,0:vw4); (2,0,2,0:vw4); (2,0,3,0:vw4); (3,0,0,0:vw4); (3,0,1,0:vw4); (3,0,2,0:vw4); (3,0,3,0:vw4); (4,0,0,0:vw4); (4,0,1,0:vw4); (4,0,2,0:vw4); (4,0,3,0:vw4); (5,0,0,0:vw4); (5,0,1,0:vw4); (5,0,2,0:vw4); (5,0,3,0:vw4); (6,0,0,0:vw4); (6,0,1,0:vw4); (6,0,2,0:vw4); (6,0,3,0:vw4); (7,0,0,0:vw4); (7,0,1,0:vw4); (7,0,2,0:vw4); (7,0,3,0:vw4) */
/******************************************/

/* calc coords, apply mask, and issue loads (if necessary) */
/* (d1,vc1,d0,vc0)=(0,0,0,0) */
v_cmp_lt_u32 s[54:55], v0, s[sgprSizeI]            // coord0 < size0
v_cmp_lt_u32 s[58:59], v1, s[sgprSizeJ]            // coord1 < size1
s_and_b64 s[58:59], s[54:55], s[58:59]             // in0 && in1
_v_add_lshl_u32 v10, v2, v0, 0x1                   // scaleToBpe: accumulate d0 lower and *= bpe into Cin addr
v_cndmask_b32 v10, -1, v10, s[58:59]               // LDC clip if OOB. offset
_buffer_load_b64 v[12:13], v10, s[sgprSrdC:sgprSrdC+3], 0, offen offset:0,  sc0 sc1 // load C for beta calc
_v_add_lshl_u32 v10, v3, v0, 0x1                   // scaleToBpe: accumulate d0 lower and *= bpe into Cin addr
v_cndmask_b32 v10, -1, v10, s[58:59]               // LDD clip if OOB. offset
/* (d1,vc1,d0,vc0)=(0,1,0,0) */
_v_add_co_u32 v1, vcc, v1, 1                       // coord1.1: coord1Vgpr += d1*sg1*VW + vc1

/* Fix for UseInitialStridesCD, emitAddressSetupCode */
_v_add_u32 v2, v2, s[sgprStrideC1J]                // ROWINC- Move cinRowPtr to next row
_v_add_u32 v3, v3, s[sgprStrideD1J]                // Move coutRowPtr to next row
v_cmp_lt_u32 s[54:55], v0, s[sgprSizeI]            // coord0 < size0
v_cmp_lt_u32 s[58:59], v1, s[sgprSizeJ]            // coord1 < size1
s_and_b64 s[58:59], s[54:55], s[58:59]             // in0 && in1
_v_add_lshl_u32 v11, v2, v0, 0x1                   // scaleToBpe: accumulate d0 lower and *= bpe into Cin addr
v_cndmask_b32 v11, -1, v11, s[58:59]               // LDC clip if OOB. offset
_buffer_load_b64 v[14:15], v11, s[sgprSrdC:sgprSrdC+3], 0, offen offset:0,  sc0 sc1 // load C for beta calc
_v_add_lshl_u32 v11, v3, v0, 0x1                   // scaleToBpe: accumulate d0 lower and *= bpe into Cin addr
v_cndmask_b32 v11, -1, v11, s[58:59]               // LDD clip if OOB. offset
/* (d1,vc1,d0,vc0)=(0,2,0,0) */
_v_add_co_u32 v1, vcc, v1, 1                       // coord1.1: coord1Vgpr += d1*sg1*VW + vc1

/* Fix for UseInitialStridesCD, emitAddressSetupCode */
_v_add_u32 v2, v2, s[sgprStrideC1J]                // ROWINC- Move cinRowPtr to next row
_v_add_u32 v3, v3, s[sgprStrideD1J]                // Move coutRowPtr to next row
v_cmp_lt_u32 s[54:55], v0, s[sgprSizeI]            // coord0 < size0
v_cmp_lt_u32 s[58:59], v1, s[sgprSizeJ]            // coord1 < size1
s_and_b64 s[58:59], s[54:55], s[58:59]             // in0 && in1
_v_add_lshl_u32 v24, v2, v0, 0x1                   // scaleToBpe: accumulate d0 lower and *= bpe into Cin addr
v_cndmask_b32 v24, -1, v24, s[58:59]               // LDC clip if OOB. offset
_buffer_load_b64 v[26:27], v24, s[sgprSrdC:sgprSrdC+3], 0, offen offset:0,  sc0 sc1 // load C for beta calc
_v_add_lshl_u32 v24, v3, v0, 0x1                   // scaleToBpe: accumulate d0 lower and *= bpe into Cin addr
v_cndmask_b32 v24, -1, v24, s[58:59]               // LDD clip if OOB. offset
/* (d1,vc1,d0,vc0)=(0,3,0,0) */
_v_add_co_u32 v1, vcc, v1, 1                       // coord1.1: coord1Vgpr += d1*sg1*VW + vc1

/* Fix for UseInitialStridesCD, emitAddressSetupCode */
_v_add_u32 v2, v2, s[sgprStrideC1J]                // ROWINC- Move cinRowPtr to next row
_v_add_u32 v3, v3, s[sgprStrideD1J]                // Move coutRowPtr to next row
v_cmp_lt_u32 s[54:55], v0, s[sgprSizeI]            // coord0 < size0
v_cmp_lt_u32 s[58:59], v1, s[sgprSizeJ]            // coord1 < size1
s_and_b64 s[58:59], s[54:55], s[58:59]             // in0 && in1
_v_add_lshl_u32 v25, v2, v0, 0x1                   // scaleToBpe: accumulate d0 lower and *= bpe into Cin addr
v_cndmask_b32 v25, -1, v25, s[58:59]               // LDC clip if OOB. offset
_buffer_load_b64 v[32:33], v25, s[sgprSrdC:sgprSrdC+3], 0, offen offset:0,  sc0 sc1 // load C for beta calc
_v_add_lshl_u32 v25, v3, v0, 0x1                   // scaleToBpe: accumulate d0 lower and *= bpe into Cin addr
v_cndmask_b32 v25, -1, v25, s[58:59]               // LDD clip if OOB. offset
/* (d1,vc1,d0,vc0)=(1,0,0,0) */
_v_add_co_u32 v1, vcc, v1, 13                      // coord1.1: coord1Vgpr += d1*sg1*VW + vc1

/* Fix for UseInitialStridesCD, emitAddressSetupCode */
s_mul_i32 s54, s[sgprStrideC1J], 13                // scale stride
_v_add_u32 v2, v2, s54                             // ROWINC- Move cinRowPtr to next row
s_mul_i32 s54, s[sgprStrideD1J], 13                // scale stride
_v_add_u32 v3, v3, s54                             // Move coutRowPtr to next row
v_cmp_lt_u32 s[54:55], v0, s[sgprSizeI]            // coord0 < size0
v_cmp_lt_u32 s[58:59], v1, s[sgprSizeJ]            // coord1 < size1
s_and_b64 s[58:59], s[54:55], s[58:59]             // in0 && in1
_v_add_lshl_u32 v34, v2, v0, 0x1                   // scaleToBpe: accumulate d0 lower and *= bpe into Cin addr
v_cndmask_b32 v34, -1, v34, s[58:59]               // LDC clip if OOB. offset
_buffer_load_b64 v[40:41], v34, s[sgprSrdC:sgprSrdC+3], 0, offen offset:0,  sc0 sc1 // load C for beta calc
_v_add_lshl_u32 v34, v3, v0, 0x1                   // scaleToBpe: accumulate d0 lower and *= bpe into Cin addr
v_cndmask_b32 v34, -1, v34, s[58:59]               // LDD clip if OOB. offset
/* (d1,vc1,d0,vc0)=(1,1,0,0) */
_v_add_co_u32 v1, vcc, v1, 1                       // coord1.1: coord1Vgpr += d1*sg1*VW + vc1

/* Fix for UseInitialStridesCD, emitAddressSetupCode */
_v_add_u32 v2, v2, s[sgprStrideC1J]                // ROWINC- Move cinRowPtr to next row
_v_add_u32 v3, v3, s[sgprStrideD1J]                // Move coutRowPtr to next row
v_cmp_lt_u32 s[54:55], v0, s[sgprSizeI]            // coord0 < size0
v_cmp_lt_u32 s[58:59], v1, s[sgprSizeJ]            // coord1 < size1
s_and_b64 s[58:59], s[54:55], s[58:59]             // in0 && in1
_v_add_lshl_u32 v35, v2, v0, 0x1                   // scaleToBpe: accumulate d0 lower and *= bpe into Cin addr
v_cndmask_b32 v35, -1, v35, s[58:59]               // LDC clip if OOB. offset
_buffer_load_b64 v[42:43], v35, s[sgprSrdC:sgprSrdC+3], 0, offen offset:0,  sc0 sc1 // load C for beta calc
_v_add_lshl_u32 v35, v3, v0, 0x1                   // scaleToBpe: accumulate d0 lower and *= bpe into Cin addr
v_cndmask_b32 v35, -1, v35, s[58:59]               // LDD clip if OOB. offset
/* (d1,vc1,d0,vc0)=(1,2,0,0) */
_v_add_co_u32 v1, vcc, v1, 1                       // coord1.1: coord1Vgpr += d1*sg1*VW + vc1

/* Fix for UseInitialStridesCD, emitAddressSetupCode */
_v_add_u32 v2, v2, s[sgprStrideC1J]                // ROWINC- Move cinRowPtr to next row
_v_add_u32 v3, v3, s[sgprStrideD1J]                // Move coutRowPtr to next row
v_cmp_lt_u32 s[54:55], v0, s[sgprSizeI]            // coord0 < size0
v_cmp_lt_u32 s[58:59], v1, s[sgprSizeJ]            // coord1 < size1
s_and_b64 s[58:59], s[54:55], s[58:59]             // in0 && in1
_v_add_lshl_u32 v52, v2, v0, 0x1                   // scaleToBpe: accumulate d0 lower and *= bpe into Cin addr
v_cndmask_b32 v52, -1, v52, s[58:59]               // LDC clip if OOB. offset
_buffer_load_b64 v[54:55], v52, s[sgprSrdC:sgprSrdC+3], 0, offen offset:0,  sc0 sc1 // load C for beta calc
_v_add_lshl_u32 v52, v3, v0, 0x1                   // scaleToBpe: accumulate d0 lower and *= bpe into Cin addr
v_cndmask_b32 v52, -1, v52, s[58:59]               // LDD clip if OOB. offset
/* (d1,vc1,d0,vc0)=(1,3,0,0) */
_v_add_co_u32 v1, vcc, v1, 1                       // coord1.1: coord1Vgpr += d1*sg1*VW + vc1

/* Fix for UseInitialStridesCD, emitAddressSetupCode */
_v_add_u32 v2, v2, s[sgprStrideC1J]                // ROWINC- Move cinRowPtr to next row
_v_add_u32 v3, v3, s[sgprStrideD1J]                // Move coutRowPtr to next row
v_cmp_lt_u32 s[54:55], v0, s[sgprSizeI]            // coord0 < size0
v_cmp_lt_u32 s[58:59], v1, s[sgprSizeJ]            // coord1 < size1
s_and_b64 s[58:59], s[54:55], s[58:59]             // in0 && in1
_v_add_lshl_u32 v53, v2, v0, 0x1                   // scaleToBpe: accumulate d0 lower and *= bpe into Cin addr
v_cndmask_b32 v53, -1, v53, s[58:59]               // LDC clip if OOB. offset
_buffer_load_b64 v[60:61], v53, s[sgprSrdC:sgprSrdC+3], 0, offen offset:0,  sc0 sc1 // load C for beta calc
_v_add_lshl_u32 v53, v3, v0, 0x1                   // scaleToBpe: accumulate d0 lower and *= bpe into Cin addr
v_cndmask_b32 v53, -1, v53, s[58:59]               // LDD clip if OOB. offset
/* (d1,vc1,d0,vc0)=(2,0,0,0) */
_v_add_co_u32 v1, vcc, v1, 13                      // coord1.1: coord1Vgpr += d1*sg1*VW + vc1

/* Fix for UseInitialStridesCD, emitAddressSetupCode */
s_mul_i32 s54, s[sgprStrideC1J], 13                // scale stride
_v_add_u32 v2, v2, s54                             // ROWINC- Move cinRowPtr to next row
s_mul_i32 s54, s[sgprStrideD1J], 13                // scale stride
_v_add_u32 v3, v3, s54                             // Move coutRowPtr to next row
	;; [unrolled: 58-line block ×3, first 2 shown]
v_cmp_lt_u32 s[54:55], v0, s[sgprSizeI]            // coord0 < size0
v_cmp_lt_u32 s[58:59], v1, s[sgprSizeJ]            // coord1 < size1
s_and_b64 s[58:59], s[54:55], s[58:59]             // in0 && in1
_v_add_lshl_u32 v90, v2, v0, 0x1                   // scaleToBpe: accumulate d0 lower and *= bpe into Cin addr
v_cndmask_b32 v90, -1, v90, s[58:59]               // LDC clip if OOB. offset
_buffer_load_b64 v[96:97], v90, s[sgprSrdC:sgprSrdC+3], 0, offen offset:0,  sc0 sc1 // load C for beta calc
_v_add_lshl_u32 v90, v3, v0, 0x1                   // scaleToBpe: accumulate d0 lower and *= bpe into Cin addr
v_cndmask_b32 v90, -1, v90, s[58:59]               // LDD clip if OOB. offset
/* (d1,vc1,d0,vc0)=(3,1,0,0) */
_v_add_co_u32 v1, vcc, v1, 1                       // coord1.1: coord1Vgpr += d1*sg1*VW + vc1

/* Fix for UseInitialStridesCD, emitAddressSetupCode */
_v_add_u32 v2, v2, s[sgprStrideC1J]                // ROWINC- Move cinRowPtr to next row
_v_add_u32 v3, v3, s[sgprStrideD1J]                // Move coutRowPtr to next row
v_cmp_lt_u32 s[54:55], v0, s[sgprSizeI]            // coord0 < size0
v_cmp_lt_u32 s[58:59], v1, s[sgprSizeJ]            // coord1 < size1
s_and_b64 s[58:59], s[54:55], s[58:59]             // in0 && in1
_v_add_lshl_u32 v91, v2, v0, 0x1                   // scaleToBpe: accumulate d0 lower and *= bpe into Cin addr
v_cndmask_b32 v91, -1, v91, s[58:59]               // LDC clip if OOB. offset
_buffer_load_b64 v[98:99], v91, s[sgprSrdC:sgprSrdC+3], 0, offen offset:0,  sc0 sc1 // load C for beta calc
_v_add_lshl_u32 v91, v3, v0, 0x1                   // scaleToBpe: accumulate d0 lower and *= bpe into Cin addr
v_cndmask_b32 v91, -1, v91, s[58:59]               // LDD clip if OOB. offset
/* (d1,vc1,d0,vc0)=(3,2,0,0) */
_v_add_co_u32 v1, vcc, v1, 1                       // coord1.1: coord1Vgpr += d1*sg1*VW + vc1

/* Fix for UseInitialStridesCD, emitAddressSetupCode */
_v_add_u32 v2, v2, s[sgprStrideC1J]                // ROWINC- Move cinRowPtr to next row
_v_add_u32 v3, v3, s[sgprStrideD1J]                // Move coutRowPtr to next row
v_cmp_lt_u32 s[54:55], v0, s[sgprSizeI]            // coord0 < size0
v_cmp_lt_u32 s[58:59], v1, s[sgprSizeJ]            // coord1 < size1
s_and_b64 s[58:59], s[54:55], s[58:59]             // in0 && in1
_v_add_lshl_u32 v108, v2, v0, 0x1                  // scaleToBpe: accumulate d0 lower and *= bpe into Cin addr
v_cndmask_b32 v108, -1, v108, s[58:59]             // LDC clip if OOB. offset
_buffer_load_b64 v[110:111], v108, s[sgprSrdC:sgprSrdC+3], 0, offen offset:0,  sc0 sc1 // load C for beta calc
_v_add_lshl_u32 v108, v3, v0, 0x1                  // scaleToBpe: accumulate d0 lower and *= bpe into Cin addr
v_cndmask_b32 v108, -1, v108, s[58:59]             // LDD clip if OOB. offset
/* (d1,vc1,d0,vc0)=(3,3,0,0) */
_v_add_co_u32 v1, vcc, v1, 1                       // coord1.1: coord1Vgpr += d1*sg1*VW + vc1

/* Fix for UseInitialStridesCD, emitAddressSetupCode */
_v_add_u32 v2, v2, s[sgprStrideC1J]                // ROWINC- Move cinRowPtr to next row
_v_add_u32 v3, v3, s[sgprStrideD1J]                // Move coutRowPtr to next row
v_cmp_lt_u32 s[54:55], v0, s[sgprSizeI]            // coord0 < size0
v_cmp_lt_u32 s[58:59], v1, s[sgprSizeJ]            // coord1 < size1
s_and_b64 s[58:59], s[54:55], s[58:59]             // in0 && in1
_v_add_lshl_u32 v109, v2, v0, 0x1                  // scaleToBpe: accumulate d0 lower and *= bpe into Cin addr
v_cndmask_b32 v109, -1, v109, s[58:59]             // LDC clip if OOB. offset
_buffer_load_b64 v[116:117], v109, s[sgprSrdC:sgprSrdC+3], 0, offen offset:0,  sc0 sc1 // load C for beta calc
_v_add_lshl_u32 v109, v3, v0, 0x1                  // scaleToBpe: accumulate d0 lower and *= bpe into Cin addr
v_cndmask_b32 v109, -1, v109, s[58:59]             // LDD clip if OOB. offset
/* (d1,vc1,d0,vc0)=(4,0,0,0) */
_v_add_co_u32 v1, vcc, v1, 13                      // coord1.1: coord1Vgpr += d1*sg1*VW + vc1

/* Fix for UseInitialStridesCD, emitAddressSetupCode */
s_mul_i32 s54, s[sgprStrideC1J], 13                // scale stride
_v_add_u32 v2, v2, s54                             // ROWINC- Move cinRowPtr to next row
s_mul_i32 s54, s[sgprStrideD1J], 13                // scale stride
_v_add_u32 v3, v3, s54                             // Move coutRowPtr to next row
v_cmp_lt_u32 s[54:55], v0, s[sgprSizeI]            // coord0 < size0
v_cmp_lt_u32 s[58:59], v1, s[sgprSizeJ]            // coord1 < size1
s_and_b64 s[58:59], s[54:55], s[58:59]             // in0 && in1
_v_add_lshl_u32 v118, v2, v0, 0x1                  // scaleToBpe: accumulate d0 lower and *= bpe into Cin addr
v_cndmask_b32 v118, -1, v118, s[58:59]             // LDC clip if OOB. offset
_buffer_load_b64 v[124:125], v118, s[sgprSrdC:sgprSrdC+3], 0, offen offset:0,  sc0 sc1 // load C for beta calc
_v_add_lshl_u32 v118, v3, v0, 0x1                  // scaleToBpe: accumulate d0 lower and *= bpe into Cin addr
v_cndmask_b32 v118, -1, v118, s[58:59]             // LDD clip if OOB. offset
/* (d1,vc1,d0,vc0)=(4,1,0,0) */
_v_add_co_u32 v1, vcc, v1, 1                       // coord1.1: coord1Vgpr += d1*sg1*VW + vc1

/* Fix for UseInitialStridesCD, emitAddressSetupCode */
_v_add_u32 v2, v2, s[sgprStrideC1J]                // ROWINC- Move cinRowPtr to next row
_v_add_u32 v3, v3, s[sgprStrideD1J]                // Move coutRowPtr to next row
v_cmp_lt_u32 s[54:55], v0, s[sgprSizeI]            // coord0 < size0
v_cmp_lt_u32 s[58:59], v1, s[sgprSizeJ]            // coord1 < size1
s_and_b64 s[58:59], s[54:55], s[58:59]             // in0 && in1
_v_add_lshl_u32 v119, v2, v0, 0x1                  // scaleToBpe: accumulate d0 lower and *= bpe into Cin addr
v_cndmask_b32 v119, -1, v119, s[58:59]             // LDC clip if OOB. offset
_buffer_load_b64 v[126:127], v119, s[sgprSrdC:sgprSrdC+3], 0, offen offset:0,  sc0 sc1 // load C for beta calc
_v_add_lshl_u32 v119, v3, v0, 0x1                  // scaleToBpe: accumulate d0 lower and *= bpe into Cin addr
v_cndmask_b32 v119, -1, v119, s[58:59]             // LDD clip if OOB. offset
/* (d1,vc1,d0,vc0)=(4,2,0,0) */
_v_add_co_u32 v1, vcc, v1, 1                       // coord1.1: coord1Vgpr += d1*sg1*VW + vc1

/* Fix for UseInitialStridesCD, emitAddressSetupCode */
_v_add_u32 v2, v2, s[sgprStrideC1J]                // ROWINC- Move cinRowPtr to next row
_v_add_u32 v3, v3, s[sgprStrideD1J]                // Move coutRowPtr to next row
v_cmp_lt_u32 s[54:55], v0, s[sgprSizeI]            // coord0 < size0
v_cmp_lt_u32 s[58:59], v1, s[sgprSizeJ]            // coord1 < size1
s_and_b64 s[58:59], s[54:55], s[58:59]             // in0 && in1
_v_add_lshl_u32 v136, v2, v0, 0x1                  // scaleToBpe: accumulate d0 lower and *= bpe into Cin addr
v_cndmask_b32 v136, -1, v136, s[58:59]             // LDC clip if OOB. offset
_buffer_load_b64 v[138:139], v136, s[sgprSrdC:sgprSrdC+3], 0, offen offset:0,  sc0 sc1 // load C for beta calc
_v_add_lshl_u32 v136, v3, v0, 0x1                  // scaleToBpe: accumulate d0 lower and *= bpe into Cin addr
v_cndmask_b32 v136, -1, v136, s[58:59]             // LDD clip if OOB. offset
/* (d1,vc1,d0,vc0)=(4,3,0,0) */
_v_add_co_u32 v1, vcc, v1, 1                       // coord1.1: coord1Vgpr += d1*sg1*VW + vc1

/* Fix for UseInitialStridesCD, emitAddressSetupCode */
_v_add_u32 v2, v2, s[sgprStrideC1J]                // ROWINC- Move cinRowPtr to next row
_v_add_u32 v3, v3, s[sgprStrideD1J]                // Move coutRowPtr to next row
v_cmp_lt_u32 s[54:55], v0, s[sgprSizeI]            // coord0 < size0
v_cmp_lt_u32 s[58:59], v1, s[sgprSizeJ]            // coord1 < size1
s_and_b64 s[58:59], s[54:55], s[58:59]             // in0 && in1
_v_add_lshl_u32 v137, v2, v0, 0x1                  // scaleToBpe: accumulate d0 lower and *= bpe into Cin addr
v_cndmask_b32 v137, -1, v137, s[58:59]             // LDC clip if OOB. offset
_buffer_load_b64 v[144:145], v137, s[sgprSrdC:sgprSrdC+3], 0, offen offset:0,  sc0 sc1 // load C for beta calc
_v_add_lshl_u32 v137, v3, v0, 0x1                  // scaleToBpe: accumulate d0 lower and *= bpe into Cin addr
v_cndmask_b32 v137, -1, v137, s[58:59]             // LDD clip if OOB. offset
/* (d1,vc1,d0,vc0)=(5,0,0,0) */
_v_add_co_u32 v1, vcc, v1, 13                      // coord1.1: coord1Vgpr += d1*sg1*VW + vc1

/* Fix for UseInitialStridesCD, emitAddressSetupCode */
s_mul_i32 s54, s[sgprStrideC1J], 13                // scale stride
_v_add_u32 v2, v2, s54                             // ROWINC- Move cinRowPtr to next row
s_mul_i32 s54, s[sgprStrideD1J], 13                // scale stride
_v_add_u32 v3, v3, s54                             // Move coutRowPtr to next row
v_cmp_lt_u32 s[54:55], v0, s[sgprSizeI]            // coord0 < size0
v_cmp_lt_u32 s[58:59], v1, s[sgprSizeJ]            // coord1 < size1
s_and_b64 s[58:59], s[54:55], s[58:59]             // in0 && in1
_v_add_lshl_u32 v146, v2, v0, 0x1                  // scaleToBpe: accumulate d0 lower and *= bpe into Cin addr
v_cndmask_b32 v146, -1, v146, s[58:59]             // LDC clip if OOB. offset
_buffer_load_b64 v[152:153], v146, s[sgprSrdC:sgprSrdC+3], 0, offen offset:0,  sc0 sc1 // load C for beta calc
_v_add_lshl_u32 v146, v3, v0, 0x1                  // scaleToBpe: accumulate d0 lower and *= bpe into Cin addr
v_cndmask_b32 v146, -1, v146, s[58:59]             // LDD clip if OOB. offset
/* (d1,vc1,d0,vc0)=(5,1,0,0) */
_v_add_co_u32 v1, vcc, v1, 1                       // coord1.1: coord1Vgpr += d1*sg1*VW + vc1

/* Fix for UseInitialStridesCD, emitAddressSetupCode */
_v_add_u32 v2, v2, s[sgprStrideC1J]                // ROWINC- Move cinRowPtr to next row
_v_add_u32 v3, v3, s[sgprStrideD1J]                // Move coutRowPtr to next row
v_cmp_lt_u32 s[54:55], v0, s[sgprSizeI]            // coord0 < size0
v_cmp_lt_u32 s[58:59], v1, s[sgprSizeJ]            // coord1 < size1
s_and_b64 s[58:59], s[54:55], s[58:59]             // in0 && in1
_v_add_lshl_u32 v147, v2, v0, 0x1                  // scaleToBpe: accumulate d0 lower and *= bpe into Cin addr
v_cndmask_b32 v147, -1, v147, s[58:59]             // LDC clip if OOB. offset
_buffer_load_b64 v[154:155], v147, s[sgprSrdC:sgprSrdC+3], 0, offen offset:0,  sc0 sc1 // load C for beta calc
_v_add_lshl_u32 v147, v3, v0, 0x1                  // scaleToBpe: accumulate d0 lower and *= bpe into Cin addr
v_cndmask_b32 v147, -1, v147, s[58:59]             // LDD clip if OOB. offset
	;; [unrolled: 58-line block ×4, first 2 shown]
/* (d1,vc1,d0,vc0)=(7,2,0,0) */
_v_add_co_u32 v1, vcc, v1, 1                       // coord1.1: coord1Vgpr += d1*sg1*VW + vc1

/* Fix for UseInitialStridesCD, emitAddressSetupCode */
_v_add_u32 v2, v2, s[sgprStrideC1J]                // ROWINC- Move cinRowPtr to next row
_v_add_u32 v3, v3, s[sgprStrideD1J]                // Move coutRowPtr to next row
v_cmp_lt_u32 s[54:55], v0, s[sgprSizeI]            // coord0 < size0
v_cmp_lt_u32 s[58:59], v1, s[sgprSizeJ]            // coord1 < size1
s_and_b64 s[58:59], s[54:55], s[58:59]             // in0 && in1
_v_add_lshl_u32 v220, v2, v0, 0x1                  // scaleToBpe: accumulate d0 lower and *= bpe into Cin addr
v_cndmask_b32 v220, -1, v220, s[58:59]             // LDC clip if OOB. offset
_buffer_load_b64 v[222:223], v220, s[sgprSrdC:sgprSrdC+3], 0, offen offset:0,  sc0 sc1 // load C for beta calc
_v_add_lshl_u32 v220, v3, v0, 0x1                  // scaleToBpe: accumulate d0 lower and *= bpe into Cin addr
v_cndmask_b32 v220, -1, v220, s[58:59]             // LDD clip if OOB. offset
/* (d1,vc1,d0,vc0)=(7,3,0,0) */
_v_add_co_u32 v1, vcc, v1, 1                       // coord1.1: coord1Vgpr += d1*sg1*VW + vc1

/* Fix for UseInitialStridesCD, emitAddressSetupCode */
_v_add_u32 v2, v2, s[sgprStrideC1J]                // ROWINC- Move cinRowPtr to next row
_v_add_u32 v3, v3, s[sgprStrideD1J]                // Move coutRowPtr to next row
v_cmp_lt_u32 s[54:55], v0, s[sgprSizeI]            // coord0 < size0
v_cmp_lt_u32 s[58:59], v1, s[sgprSizeJ]            // coord1 < size1
s_and_b64 s[58:59], s[54:55], s[58:59]             // in0 && in1
_v_add_lshl_u32 v221, v2, v0, 0x1                  // scaleToBpe: accumulate d0 lower and *= bpe into Cin addr
v_cndmask_b32 v221, -1, v221, s[58:59]             // LDC clip if OOB. offset
_buffer_load_b64 v[228:229], v221, s[sgprSrdC:sgprSrdC+3], 0, offen offset:0,  sc0 sc1 // load C for beta calc
_v_add_lshl_u32 v221, v3, v0, 0x1                  // scaleToBpe: accumulate d0 lower and *= bpe into Cin addr
v_cndmask_b32 v221, -1, v221, s[58:59]             // LDD clip if OOB. offset
v_accvgpr_read_b32 v[vgprValuC+16], acc0 // copy acc to vreg[0]
v_accvgpr_read_b32 v[vgprValuC+17], acc4 // copy acc to vreg[1]
v_accvgpr_read_b32 v[vgprValuC+18], acc8 // copy acc to vreg[2]
v_accvgpr_read_b32 v[vgprValuC+19], acc12 // copy acc to vreg[3]
v_accvgpr_read_b32 v[vgprValuC+20], acc1 // copy acc to vreg[4]
v_accvgpr_read_b32 v[vgprValuC+21], acc5 // copy acc to vreg[5]
v_accvgpr_read_b32 v[vgprValuC+22], acc9 // copy acc to vreg[6]
v_accvgpr_read_b32 v[vgprValuC+23], acc13 // copy acc to vreg[7]
v_accvgpr_read_b32 v[vgprValuC+28], acc2 // copy acc to vreg[8]
v_accvgpr_read_b32 v[vgprValuC+29], acc6 // copy acc to vreg[9]
v_accvgpr_read_b32 v[vgprValuC+30], acc10 // copy acc to vreg[10]
v_accvgpr_read_b32 v[vgprValuC+31], acc14 // copy acc to vreg[11]
v_accvgpr_read_b32 v[vgprValuC+36], acc3 // copy acc to vreg[12]
v_accvgpr_read_b32 v[vgprValuC+37], acc7 // copy acc to vreg[13]
v_accvgpr_read_b32 v[vgprValuC+38], acc11 // copy acc to vreg[14]
v_accvgpr_read_b32 v[vgprValuC+39], acc15 // copy acc to vreg[15]
v_accvgpr_read_b32 v[vgprValuC+44], acc16 // copy acc to vreg[16]
v_accvgpr_read_b32 v[vgprValuC+45], acc20 // copy acc to vreg[17]
v_accvgpr_read_b32 v[vgprValuC+46], acc24 // copy acc to vreg[18]
v_accvgpr_read_b32 v[vgprValuC+47], acc28 // copy acc to vreg[19]
v_accvgpr_read_b32 v[vgprValuC+48], acc17 // copy acc to vreg[20]
v_accvgpr_read_b32 v[vgprValuC+49], acc21 // copy acc to vreg[21]
v_accvgpr_read_b32 v[vgprValuC+50], acc25 // copy acc to vreg[22]
v_accvgpr_read_b32 v[vgprValuC+51], acc29 // copy acc to vreg[23]
v_accvgpr_read_b32 v[vgprValuC+56], acc18 // copy acc to vreg[24]
v_accvgpr_read_b32 v[vgprValuC+57], acc22 // copy acc to vreg[25]
v_accvgpr_read_b32 v[vgprValuC+58], acc26 // copy acc to vreg[26]
v_accvgpr_read_b32 v[vgprValuC+59], acc30 // copy acc to vreg[27]
v_accvgpr_read_b32 v[vgprValuC+64], acc19 // copy acc to vreg[28]
v_accvgpr_read_b32 v[vgprValuC+65], acc23 // copy acc to vreg[29]
v_accvgpr_read_b32 v[vgprValuC+66], acc27 // copy acc to vreg[30]
v_accvgpr_read_b32 v[vgprValuC+67], acc31 // copy acc to vreg[31]
v_accvgpr_read_b32 v[vgprValuC+72], acc32 // copy acc to vreg[32]
v_accvgpr_read_b32 v[vgprValuC+73], acc36 // copy acc to vreg[33]
v_accvgpr_read_b32 v[vgprValuC+74], acc40 // copy acc to vreg[34]
v_accvgpr_read_b32 v[vgprValuC+75], acc44 // copy acc to vreg[35]
v_accvgpr_read_b32 v[vgprValuC+76], acc33 // copy acc to vreg[36]
v_accvgpr_read_b32 v[vgprValuC+77], acc37 // copy acc to vreg[37]
v_accvgpr_read_b32 v[vgprValuC+78], acc41 // copy acc to vreg[38]
v_accvgpr_read_b32 v[vgprValuC+79], acc45 // copy acc to vreg[39]
v_accvgpr_read_b32 v[vgprValuC+84], acc34 // copy acc to vreg[40]
v_accvgpr_read_b32 v[vgprValuC+85], acc38 // copy acc to vreg[41]
v_accvgpr_read_b32 v[vgprValuC+86], acc42 // copy acc to vreg[42]
v_accvgpr_read_b32 v[vgprValuC+87], acc46 // copy acc to vreg[43]
v_accvgpr_read_b32 v[vgprValuC+92], acc35 // copy acc to vreg[44]
v_accvgpr_read_b32 v[vgprValuC+93], acc39 // copy acc to vreg[45]
v_accvgpr_read_b32 v[vgprValuC+94], acc43 // copy acc to vreg[46]
v_accvgpr_read_b32 v[vgprValuC+95], acc47 // copy acc to vreg[47]
v_accvgpr_read_b32 v[vgprValuC+100], acc48 // copy acc to vreg[48]
v_accvgpr_read_b32 v[vgprValuC+101], acc52 // copy acc to vreg[49]
v_accvgpr_read_b32 v[vgprValuC+102], acc56 // copy acc to vreg[50]
v_accvgpr_read_b32 v[vgprValuC+103], acc60 // copy acc to vreg[51]
v_accvgpr_read_b32 v[vgprValuC+104], acc49 // copy acc to vreg[52]
v_accvgpr_read_b32 v[vgprValuC+105], acc53 // copy acc to vreg[53]
v_accvgpr_read_b32 v[vgprValuC+106], acc57 // copy acc to vreg[54]
v_accvgpr_read_b32 v[vgprValuC+107], acc61 // copy acc to vreg[55]
v_accvgpr_read_b32 v[vgprValuC+112], acc50 // copy acc to vreg[56]
v_accvgpr_read_b32 v[vgprValuC+113], acc54 // copy acc to vreg[57]
v_accvgpr_read_b32 v[vgprValuC+114], acc58 // copy acc to vreg[58]
v_accvgpr_read_b32 v[vgprValuC+115], acc62 // copy acc to vreg[59]
v_accvgpr_read_b32 v[vgprValuC+120], acc51 // copy acc to vreg[60]
v_accvgpr_read_b32 v[vgprValuC+121], acc55 // copy acc to vreg[61]
v_accvgpr_read_b32 v[vgprValuC+122], acc59 // copy acc to vreg[62]
v_accvgpr_read_b32 v[vgprValuC+123], acc63 // copy acc to vreg[63]
v_accvgpr_read_b32 v[vgprValuC+128], acc64 // copy acc to vreg[64]
v_accvgpr_read_b32 v[vgprValuC+129], acc68 // copy acc to vreg[65]
v_accvgpr_read_b32 v[vgprValuC+130], acc72 // copy acc to vreg[66]
v_accvgpr_read_b32 v[vgprValuC+131], acc76 // copy acc to vreg[67]
v_accvgpr_read_b32 v[vgprValuC+132], acc65 // copy acc to vreg[68]
v_accvgpr_read_b32 v[vgprValuC+133], acc69 // copy acc to vreg[69]
v_accvgpr_read_b32 v[vgprValuC+134], acc73 // copy acc to vreg[70]
v_accvgpr_read_b32 v[vgprValuC+135], acc77 // copy acc to vreg[71]
v_accvgpr_read_b32 v[vgprValuC+140], acc66 // copy acc to vreg[72]
v_accvgpr_read_b32 v[vgprValuC+141], acc70 // copy acc to vreg[73]
v_accvgpr_read_b32 v[vgprValuC+142], acc74 // copy acc to vreg[74]
v_accvgpr_read_b32 v[vgprValuC+143], acc78 // copy acc to vreg[75]
v_accvgpr_read_b32 v[vgprValuC+148], acc67 // copy acc to vreg[76]
v_accvgpr_read_b32 v[vgprValuC+149], acc71 // copy acc to vreg[77]
v_accvgpr_read_b32 v[vgprValuC+150], acc75 // copy acc to vreg[78]
v_accvgpr_read_b32 v[vgprValuC+151], acc79 // copy acc to vreg[79]
v_accvgpr_read_b32 v[vgprValuC+156], acc80 // copy acc to vreg[80]
v_accvgpr_read_b32 v[vgprValuC+157], acc84 // copy acc to vreg[81]
v_accvgpr_read_b32 v[vgprValuC+158], acc88 // copy acc to vreg[82]
v_accvgpr_read_b32 v[vgprValuC+159], acc92 // copy acc to vreg[83]
v_accvgpr_read_b32 v[vgprValuC+160], acc81 // copy acc to vreg[84]
v_accvgpr_read_b32 v[vgprValuC+161], acc85 // copy acc to vreg[85]
v_accvgpr_read_b32 v[vgprValuC+162], acc89 // copy acc to vreg[86]
v_accvgpr_read_b32 v[vgprValuC+163], acc93 // copy acc to vreg[87]
v_accvgpr_read_b32 v[vgprValuC+168], acc82 // copy acc to vreg[88]
v_accvgpr_read_b32 v[vgprValuC+169], acc86 // copy acc to vreg[89]
v_accvgpr_read_b32 v[vgprValuC+170], acc90 // copy acc to vreg[90]
v_accvgpr_read_b32 v[vgprValuC+171], acc94 // copy acc to vreg[91]
v_accvgpr_read_b32 v[vgprValuC+176], acc83 // copy acc to vreg[92]
v_accvgpr_read_b32 v[vgprValuC+177], acc87 // copy acc to vreg[93]
v_accvgpr_read_b32 v[vgprValuC+178], acc91 // copy acc to vreg[94]
v_accvgpr_read_b32 v[vgprValuC+179], acc95 // copy acc to vreg[95]
v_accvgpr_read_b32 v[vgprValuC+184], acc96 // copy acc to vreg[96]
v_accvgpr_read_b32 v[vgprValuC+185], acc100 // copy acc to vreg[97]
v_accvgpr_read_b32 v[vgprValuC+186], acc104 // copy acc to vreg[98]
v_accvgpr_read_b32 v[vgprValuC+187], acc108 // copy acc to vreg[99]
v_accvgpr_read_b32 v[vgprValuC+188], acc97 // copy acc to vreg[100]
v_accvgpr_read_b32 v[vgprValuC+189], acc101 // copy acc to vreg[101]
v_accvgpr_read_b32 v[vgprValuC+190], acc105 // copy acc to vreg[102]
v_accvgpr_read_b32 v[vgprValuC+191], acc109 // copy acc to vreg[103]
v_accvgpr_read_b32 v[vgprValuC+196], acc98 // copy acc to vreg[104]
v_accvgpr_read_b32 v[vgprValuC+197], acc102 // copy acc to vreg[105]
v_accvgpr_read_b32 v[vgprValuC+198], acc106 // copy acc to vreg[106]
v_accvgpr_read_b32 v[vgprValuC+199], acc110 // copy acc to vreg[107]
v_accvgpr_read_b32 v[vgprValuC+204], acc99 // copy acc to vreg[108]
v_accvgpr_read_b32 v[vgprValuC+205], acc103 // copy acc to vreg[109]
v_accvgpr_read_b32 v[vgprValuC+206], acc107 // copy acc to vreg[110]
v_accvgpr_read_b32 v[vgprValuC+207], acc111 // copy acc to vreg[111]
v_accvgpr_read_b32 v[vgprValuC+212], acc112 // copy acc to vreg[112]
v_accvgpr_read_b32 v[vgprValuC+213], acc116 // copy acc to vreg[113]
v_accvgpr_read_b32 v[vgprValuC+214], acc120 // copy acc to vreg[114]
v_accvgpr_read_b32 v[vgprValuC+215], acc124 // copy acc to vreg[115]
v_accvgpr_read_b32 v[vgprValuC+216], acc113 // copy acc to vreg[116]
v_accvgpr_read_b32 v[vgprValuC+217], acc117 // copy acc to vreg[117]
v_accvgpr_read_b32 v[vgprValuC+218], acc121 // copy acc to vreg[118]
v_accvgpr_read_b32 v[vgprValuC+219], acc125 // copy acc to vreg[119]
v_accvgpr_read_b32 v[vgprValuC+224], acc114 // copy acc to vreg[120]
v_accvgpr_read_b32 v[vgprValuC+225], acc118 // copy acc to vreg[121]
v_accvgpr_read_b32 v[vgprValuC+226], acc122 // copy acc to vreg[122]
v_accvgpr_read_b32 v[vgprValuC+227], acc126 // copy acc to vreg[123]
v_accvgpr_read_b32 v[vgprValuC+232], acc115 // copy acc to vreg[124]
v_accvgpr_read_b32 v[vgprValuC+233], acc119 // copy acc to vreg[125]
v_accvgpr_read_b32 v[vgprValuC+234], acc123 // copy acc to vreg[126]
v_accvgpr_read_b32 v[vgprValuC+235], acc127 // copy acc to vreg[127]
s_nop 1                                            // 2 wait states required before reading vgpr

/* rC *= alpha batchElements=[(0, 0, 0, 0), (0, 0, 1, 0), (0, 0, 2, 0), (0, 0, 3, 0), (1, 0, 0, 0), (1, 0, 1, 0), (1, 0, 2, 0), (1, 0, 3, 0), (2, 0, 0, 0), (2, 0, 1, 0), (2, 0, 2, 0), (2, 0, 3, 0), (3, 0, 0, 0), (3, 0, 1, 0), (3, 0, 2, 0), (3, 0, 3, 0), (4, 0, 0, 0), (4, 0, 1, 0), (4, 0, 2, 0), (4, 0, 3, 0), (5, 0, 0, 0), (5, 0, 1, 0), (5, 0, 2, 0), (5, 0, 3, 0), (6, 0, 0, 0), (6, 0, 1, 0), (6, 0, 2, 0), (6, 0, 3, 0), (7, 0, 0, 0), (7, 0, 1, 0), (7, 0, 2, 0), (7, 0, 3, 0)] */
v_mul_f32 v[vgprValuC+16], s[sgprAlpha], v[vgprValuC+16] // *= alpha
v_mul_f32 v[vgprValuC+17], s[sgprAlpha], v[vgprValuC+17] // *= alpha
	;; [unrolled: 1-line block ×128, first 2 shown]
s_waitcnt vmcnt(0)                                 // wait C

/* apply mask, calc new C and issue writes */
v_mov_b32 v7, 0xffff0000                           // mask for pack two bfloat16 element to 32bit
v_mov_b32 v8, 0x7fff0000                           // fp32 Nan
v_mov_b32 v9, 0x7fff                               // rounding bias for bfloat16
v_lshlrev_b32 v4, 16, v12                          // convert bf16 to fp32
_v_mac_f32 v[vgprValuC+16], v4, s[sgprBeta]        // finalSum = sum*alpha + C*beta
v_and_b32 v4, v12, v7                              // convert bf16 to fp32
_v_mac_f32 v[vgprValuC+17], v4, s[sgprBeta]        // finalSum = sum*alpha + C*beta
v_lshlrev_b32 v4, 16, v13                          // convert bf16 to fp32
_v_mac_f32 v[vgprValuC+18], v4, s[sgprBeta]        // finalSum = sum*alpha + C*beta
v_and_b32 v4, v13, v7                              // convert bf16 to fp32
_v_mac_f32 v[vgprValuC+19], v4, s[sgprBeta]        // finalSum = sum*alpha + C*beta
v_cmp_u_f32 s[54:55], v[vgprValuC+16], v[vgprValuC+16] // check Nan
v_bfe_u32 v6, v[vgprValuC+16], 16, 1               // Non-Nan case: store lsb of bf16
v_add3_u32 v6, v[vgprValuC+16], v6, v9             // Non-Nan case: add lsb and the increment for rounding
v_cndmask_b32 v[vgprValuC+16], v6, v8, s[54:55]    // 
v_lshrrev_b32 v[vgprValuC+16], 16, v[vgprValuC+16] // convert C to bf16
v_cmp_u_f32 s[54:55], v[vgprValuC+17], v[vgprValuC+17] // check Nan
v_bfe_u32 v6, v[vgprValuC+17], 16, 1               // Non-Nan case: store lsb of bf16
v_add3_u32 v6, v[vgprValuC+17], v6, v9             // Non-Nan case: add lsb and the increment for rounding
v_cndmask_b32 v[vgprValuC+17], v6, v8, s[54:55]    // 
v_and_or_b32 v16, v[vgprValuC+17], v7, v[vgprValuC+16] // pack two bf16 to dword
v_cmp_u_f32 s[54:55], v[vgprValuC+18], v[vgprValuC+18] // check Nan
v_bfe_u32 v6, v[vgprValuC+18], 16, 1               // Non-Nan case: store lsb of bf16
v_add3_u32 v6, v[vgprValuC+18], v6, v9             // Non-Nan case: add lsb and the increment for rounding
v_cndmask_b32 v[vgprValuC+18], v6, v8, s[54:55]    // 
v_lshrrev_b32 v[vgprValuC+18], 16, v[vgprValuC+18] // convert C to bf16
v_cmp_u_f32 s[54:55], v[vgprValuC+19], v[vgprValuC+19] // check Nan
v_bfe_u32 v6, v[vgprValuC+19], 16, 1               // Non-Nan case: store lsb of bf16
v_add3_u32 v6, v[vgprValuC+19], v6, v9             // Non-Nan case: add lsb and the increment for rounding
v_cndmask_b32 v[vgprValuC+19], v6, v8, s[54:55]    // 
v_and_or_b32 v17, v[vgprValuC+19], v7, v[vgprValuC+18] // pack two bf16 to dword
_buffer_store_b64 v[16:17], v10, s[sgprSrdD:sgprSrdD+3], 0, offen, offset:0,  sc0 sc1 // store D
v_lshlrev_b32 v4, 16, v14                          // convert bf16 to fp32
_v_mac_f32 v[vgprValuC+20], v4, s[sgprBeta]        // finalSum = sum*alpha + C*beta
v_and_b32 v4, v14, v7                              // convert bf16 to fp32
_v_mac_f32 v[vgprValuC+21], v4, s[sgprBeta]        // finalSum = sum*alpha + C*beta
v_lshlrev_b32 v4, 16, v15                          // convert bf16 to fp32
_v_mac_f32 v[vgprValuC+22], v4, s[sgprBeta]        // finalSum = sum*alpha + C*beta
v_and_b32 v4, v15, v7                              // convert bf16 to fp32
_v_mac_f32 v[vgprValuC+23], v4, s[sgprBeta]        // finalSum = sum*alpha + C*beta
v_cmp_u_f32 s[54:55], v[vgprValuC+20], v[vgprValuC+20] // check Nan
v_bfe_u32 v6, v[vgprValuC+20], 16, 1               // Non-Nan case: store lsb of bf16
v_add3_u32 v6, v[vgprValuC+20], v6, v9             // Non-Nan case: add lsb and the increment for rounding
v_cndmask_b32 v[vgprValuC+20], v6, v8, s[54:55]    // 
v_lshrrev_b32 v[vgprValuC+20], 16, v[vgprValuC+20] // convert C to bf16
v_cmp_u_f32 s[54:55], v[vgprValuC+21], v[vgprValuC+21] // check Nan
v_bfe_u32 v6, v[vgprValuC+21], 16, 1               // Non-Nan case: store lsb of bf16
v_add3_u32 v6, v[vgprValuC+21], v6, v9             // Non-Nan case: add lsb and the increment for rounding
v_cndmask_b32 v[vgprValuC+21], v6, v8, s[54:55]    // 
v_and_or_b32 v20, v[vgprValuC+21], v7, v[vgprValuC+20] // pack two bf16 to dword
v_cmp_u_f32 s[54:55], v[vgprValuC+22], v[vgprValuC+22] // check Nan
v_bfe_u32 v6, v[vgprValuC+22], 16, 1               // Non-Nan case: store lsb of bf16
v_add3_u32 v6, v[vgprValuC+22], v6, v9             // Non-Nan case: add lsb and the increment for rounding
v_cndmask_b32 v[vgprValuC+22], v6, v8, s[54:55]    // 
v_lshrrev_b32 v[vgprValuC+22], 16, v[vgprValuC+22] // convert C to bf16
v_cmp_u_f32 s[54:55], v[vgprValuC+23], v[vgprValuC+23] // check Nan
v_bfe_u32 v6, v[vgprValuC+23], 16, 1               // Non-Nan case: store lsb of bf16
v_add3_u32 v6, v[vgprValuC+23], v6, v9             // Non-Nan case: add lsb and the increment for rounding
v_cndmask_b32 v[vgprValuC+23], v6, v8, s[54:55]    // 
v_and_or_b32 v21, v[vgprValuC+23], v7, v[vgprValuC+22] // pack two bf16 to dword
_buffer_store_b64 v[20:21], v11, s[sgprSrdD:sgprSrdD+3], 0, offen, offset:0,  sc0 sc1 // store D
	;; [unrolled: 29-line block ×12, first 2 shown]
v_lshlrev_b32 v4, 16, v96                          // convert bf16 to fp32
_v_mac_f32 v[vgprValuC+100], v4, s[sgprBeta]       // finalSum = sum*alpha + C*beta
v_and_b32 v4, v96, v7                              // convert bf16 to fp32
_v_mac_f32 v[vgprValuC+101], v4, s[sgprBeta]       // finalSum = sum*alpha + C*beta
v_lshlrev_b32 v4, 16, v97                          // convert bf16 to fp32
_v_mac_f32 v[vgprValuC+102], v4, s[sgprBeta]       // finalSum = sum*alpha + C*beta
v_and_b32 v4, v97, v7                              // convert bf16 to fp32
_v_mac_f32 v[vgprValuC+103], v4, s[sgprBeta]       // finalSum = sum*alpha + C*beta
v_cmp_u_f32 s[54:55], v[vgprValuC+100], v[vgprValuC+100] // check Nan
v_bfe_u32 v6, v[vgprValuC+100], 16, 1              // Non-Nan case: store lsb of bf16
v_add3_u32 v6, v[vgprValuC+100], v6, v9            // Non-Nan case: add lsb and the increment for rounding
v_cndmask_b32 v[vgprValuC+100], v6, v8, s[54:55]   // 
v_lshrrev_b32 v[vgprValuC+100], 16, v[vgprValuC+100] // convert C to bf16
v_cmp_u_f32 s[54:55], v[vgprValuC+101], v[vgprValuC+101] // check Nan
v_bfe_u32 v6, v[vgprValuC+101], 16, 1              // Non-Nan case: store lsb of bf16
v_add3_u32 v6, v[vgprValuC+101], v6, v9            // Non-Nan case: add lsb and the increment for rounding
v_cndmask_b32 v[vgprValuC+101], v6, v8, s[54:55]   // 
v_and_or_b32 v100, v[vgprValuC+101], v7, v[vgprValuC+100] // pack two bf16 to dword
v_cmp_u_f32 s[54:55], v[vgprValuC+102], v[vgprValuC+102] // check Nan
v_bfe_u32 v6, v[vgprValuC+102], 16, 1              // Non-Nan case: store lsb of bf16
v_add3_u32 v6, v[vgprValuC+102], v6, v9            // Non-Nan case: add lsb and the increment for rounding
v_cndmask_b32 v[vgprValuC+102], v6, v8, s[54:55]   // 
v_lshrrev_b32 v[vgprValuC+102], 16, v[vgprValuC+102] // convert C to bf16
v_cmp_u_f32 s[54:55], v[vgprValuC+103], v[vgprValuC+103] // check Nan
v_bfe_u32 v6, v[vgprValuC+103], 16, 1              // Non-Nan case: store lsb of bf16
v_add3_u32 v6, v[vgprValuC+103], v6, v9            // Non-Nan case: add lsb and the increment for rounding
v_cndmask_b32 v[vgprValuC+103], v6, v8, s[54:55]   // 
v_and_or_b32 v101, v[vgprValuC+103], v7, v[vgprValuC+102] // pack two bf16 to dword
_buffer_store_b64 v[100:101], v90, s[sgprSrdD:sgprSrdD+3], 0, offen, offset:0,  sc0 sc1 // store D
v_lshlrev_b32 v4, 16, v98                          // convert bf16 to fp32
_v_mac_f32 v[vgprValuC+104], v4, s[sgprBeta]       // finalSum = sum*alpha + C*beta
v_and_b32 v4, v98, v7                              // convert bf16 to fp32
_v_mac_f32 v[vgprValuC+105], v4, s[sgprBeta]       // finalSum = sum*alpha + C*beta
v_lshlrev_b32 v4, 16, v99                          // convert bf16 to fp32
_v_mac_f32 v[vgprValuC+106], v4, s[sgprBeta]       // finalSum = sum*alpha + C*beta
v_and_b32 v4, v99, v7                              // convert bf16 to fp32
_v_mac_f32 v[vgprValuC+107], v4, s[sgprBeta]       // finalSum = sum*alpha + C*beta
v_cmp_u_f32 s[54:55], v[vgprValuC+104], v[vgprValuC+104] // check Nan
v_bfe_u32 v6, v[vgprValuC+104], 16, 1              // Non-Nan case: store lsb of bf16
v_add3_u32 v6, v[vgprValuC+104], v6, v9            // Non-Nan case: add lsb and the increment for rounding
v_cndmask_b32 v[vgprValuC+104], v6, v8, s[54:55]   // 
v_lshrrev_b32 v[vgprValuC+104], 16, v[vgprValuC+104] // convert C to bf16
v_cmp_u_f32 s[54:55], v[vgprValuC+105], v[vgprValuC+105] // check Nan
v_bfe_u32 v6, v[vgprValuC+105], 16, 1              // Non-Nan case: store lsb of bf16
v_add3_u32 v6, v[vgprValuC+105], v6, v9            // Non-Nan case: add lsb and the increment for rounding
v_cndmask_b32 v[vgprValuC+105], v6, v8, s[54:55]   // 
v_and_or_b32 v104, v[vgprValuC+105], v7, v[vgprValuC+104] // pack two bf16 to dword
v_cmp_u_f32 s[54:55], v[vgprValuC+106], v[vgprValuC+106] // check Nan
v_bfe_u32 v6, v[vgprValuC+106], 16, 1              // Non-Nan case: store lsb of bf16
v_add3_u32 v6, v[vgprValuC+106], v6, v9            // Non-Nan case: add lsb and the increment for rounding
v_cndmask_b32 v[vgprValuC+106], v6, v8, s[54:55]   // 
v_lshrrev_b32 v[vgprValuC+106], 16, v[vgprValuC+106] // convert C to bf16
v_cmp_u_f32 s[54:55], v[vgprValuC+107], v[vgprValuC+107] // check Nan
v_bfe_u32 v6, v[vgprValuC+107], 16, 1              // Non-Nan case: store lsb of bf16
v_add3_u32 v6, v[vgprValuC+107], v6, v9            // Non-Nan case: add lsb and the increment for rounding
v_cndmask_b32 v[vgprValuC+107], v6, v8, s[54:55]   // 
v_and_or_b32 v105, v[vgprValuC+107], v7, v[vgprValuC+106] // pack two bf16 to dword
_buffer_store_b64 v[104:105], v91, s[sgprSrdD:sgprSrdD+3], 0, offen, offset:0,  sc0 sc1 // store D
v_lshlrev_b32 v4, 16, v110                         // convert bf16 to fp32
_v_mac_f32 v[vgprValuC+112], v4, s[sgprBeta]       // finalSum = sum*alpha + C*beta
v_and_b32 v4, v110, v7                             // convert bf16 to fp32
_v_mac_f32 v[vgprValuC+113], v4, s[sgprBeta]       // finalSum = sum*alpha + C*beta
v_lshlrev_b32 v4, 16, v111                         // convert bf16 to fp32
_v_mac_f32 v[vgprValuC+114], v4, s[sgprBeta]       // finalSum = sum*alpha + C*beta
v_and_b32 v4, v111, v7                             // convert bf16 to fp32
_v_mac_f32 v[vgprValuC+115], v4, s[sgprBeta]       // finalSum = sum*alpha + C*beta
v_cmp_u_f32 s[54:55], v[vgprValuC+112], v[vgprValuC+112] // check Nan
v_bfe_u32 v6, v[vgprValuC+112], 16, 1              // Non-Nan case: store lsb of bf16
v_add3_u32 v6, v[vgprValuC+112], v6, v9            // Non-Nan case: add lsb and the increment for rounding
v_cndmask_b32 v[vgprValuC+112], v6, v8, s[54:55]   // 
v_lshrrev_b32 v[vgprValuC+112], 16, v[vgprValuC+112] // convert C to bf16
v_cmp_u_f32 s[54:55], v[vgprValuC+113], v[vgprValuC+113] // check Nan
v_bfe_u32 v6, v[vgprValuC+113], 16, 1              // Non-Nan case: store lsb of bf16
v_add3_u32 v6, v[vgprValuC+113], v6, v9            // Non-Nan case: add lsb and the increment for rounding
v_cndmask_b32 v[vgprValuC+113], v6, v8, s[54:55]   // 
v_and_or_b32 v112, v[vgprValuC+113], v7, v[vgprValuC+112] // pack two bf16 to dword
v_cmp_u_f32 s[54:55], v[vgprValuC+114], v[vgprValuC+114] // check Nan
v_bfe_u32 v6, v[vgprValuC+114], 16, 1              // Non-Nan case: store lsb of bf16
v_add3_u32 v6, v[vgprValuC+114], v6, v9            // Non-Nan case: add lsb and the increment for rounding
v_cndmask_b32 v[vgprValuC+114], v6, v8, s[54:55]   // 
v_lshrrev_b32 v[vgprValuC+114], 16, v[vgprValuC+114] // convert C to bf16
v_cmp_u_f32 s[54:55], v[vgprValuC+115], v[vgprValuC+115] // check Nan
v_bfe_u32 v6, v[vgprValuC+115], 16, 1              // Non-Nan case: store lsb of bf16
v_add3_u32 v6, v[vgprValuC+115], v6, v9            // Non-Nan case: add lsb and the increment for rounding
v_cndmask_b32 v[vgprValuC+115], v6, v8, s[54:55]   // 
v_and_or_b32 v113, v[vgprValuC+115], v7, v[vgprValuC+114] // pack two bf16 to dword
_buffer_store_b64 v[112:113], v108, s[sgprSrdD:sgprSrdD+3], 0, offen, offset:0,  sc0 sc1 // store D
v_lshlrev_b32 v4, 16, v116                         // convert bf16 to fp32
_v_mac_f32 v[vgprValuC+120], v4, s[sgprBeta]       // finalSum = sum*alpha + C*beta
v_and_b32 v4, v116, v7                             // convert bf16 to fp32
_v_mac_f32 v[vgprValuC+121], v4, s[sgprBeta]       // finalSum = sum*alpha + C*beta
v_lshlrev_b32 v4, 16, v117                         // convert bf16 to fp32
_v_mac_f32 v[vgprValuC+122], v4, s[sgprBeta]       // finalSum = sum*alpha + C*beta
v_and_b32 v4, v117, v7                             // convert bf16 to fp32
	;; [unrolled: 29-line block ×18, first 2 shown]
_v_mac_f32 v[vgprValuC+235], v4, s[sgprBeta]       // finalSum = sum*alpha + C*beta
v_cmp_u_f32 s[54:55], v[vgprValuC+232], v[vgprValuC+232] // check Nan
v_bfe_u32 v6, v[vgprValuC+232], 16, 1              // Non-Nan case: store lsb of bf16
v_add3_u32 v6, v[vgprValuC+232], v6, v9            // Non-Nan case: add lsb and the increment for rounding
v_cndmask_b32 v[vgprValuC+232], v6, v8, s[54:55]   // 
v_lshrrev_b32 v[vgprValuC+232], 16, v[vgprValuC+232] // convert C to bf16
v_cmp_u_f32 s[54:55], v[vgprValuC+233], v[vgprValuC+233] // check Nan
v_bfe_u32 v6, v[vgprValuC+233], 16, 1              // Non-Nan case: store lsb of bf16
v_add3_u32 v6, v[vgprValuC+233], v6, v9            // Non-Nan case: add lsb and the increment for rounding
v_cndmask_b32 v[vgprValuC+233], v6, v8, s[54:55]   // 
v_and_or_b32 v232, v[vgprValuC+233], v7, v[vgprValuC+232] // pack two bf16 to dword
v_cmp_u_f32 s[54:55], v[vgprValuC+234], v[vgprValuC+234] // check Nan
v_bfe_u32 v6, v[vgprValuC+234], 16, 1              // Non-Nan case: store lsb of bf16
v_add3_u32 v6, v[vgprValuC+234], v6, v9            // Non-Nan case: add lsb and the increment for rounding
v_cndmask_b32 v[vgprValuC+234], v6, v8, s[54:55]   // 
v_lshrrev_b32 v[vgprValuC+234], 16, v[vgprValuC+234] // convert C to bf16
v_cmp_u_f32 s[54:55], v[vgprValuC+235], v[vgprValuC+235] // check Nan
v_bfe_u32 v6, v[vgprValuC+235], 16, 1              // Non-Nan case: store lsb of bf16
v_add3_u32 v6, v[vgprValuC+235], v6, v9            // Non-Nan case: add lsb and the increment for rounding
v_cndmask_b32 v[vgprValuC+235], v6, v8, s[54:55]   // 
v_and_or_b32 v233, v[vgprValuC+235], v7, v[vgprValuC+234] // pack two bf16 to dword
_buffer_store_b64 v[232:233], v221, s[sgprSrdD:sgprSrdD+3], 0, offen, offset:0,  sc0 sc1 // store D
s_nop 0                                            // 1 wait state required when next inst writes vgprs held by previous dwordx4 store inst
/* optSingleColVgpr=0 optSharedColVgpr=0 optSGPRUsage=BufferLoad_Edge_Mask optSrdIncForRow=0 */

/******************************************/
/* Global Write Alpha Beta Edge Batch #1 (d1,d0,vc1,vc0) = */
/*    (8,0,0,0:vw4); (8,0,1,0:vw4); (8,0,2,0:vw4); (8,0,3,0:vw4); (9,0,0,0:vw4); (9,0,1,0:vw4); (9,0,2,0:vw4); (9,0,3,0:vw4); (10,0,0,0:vw4); (10,0,1,0:vw4); (10,0,2,0:vw4); (10,0,3,0:vw4); (11,0,0,0:vw4); (11,0,1,0:vw4); (11,0,2,0:vw4); (11,0,3,0:vw4); (12,0,0,0:vw4); (12,0,1,0:vw4); (12,0,2,0:vw4); (12,0,3,0:vw4); (13,0,0,0:vw4); (13,0,1,0:vw4); (13,0,2,0:vw4); (13,0,3,0:vw4) */
/******************************************/

/* calc coords, apply mask, and issue loads (if necessary) */
/* (d1,vc1,d0,vc0)=(8,0,0,0) */
_v_add_co_u32 v1, vcc, v1, 13                      // coord1.1: coord1Vgpr += d1*sg1*VW + vc1

/* Fix for UseInitialStridesCD, emitAddressSetupCode */
s_mul_i32 s54, s[sgprStrideC1J], 13                // scale stride
_v_add_u32 v2, v2, s54                             // ROWINC- Move cinRowPtr to next row
s_mul_i32 s54, s[sgprStrideD1J], 13                // scale stride
_v_add_u32 v3, v3, s54                             // Move coutRowPtr to next row
v_cmp_lt_u32 s[54:55], v0, s[sgprSizeI]            // coord0 < size0
v_cmp_lt_u32 s[58:59], v1, s[sgprSizeJ]            // coord1 < size1
s_and_b64 s[58:59], s[54:55], s[58:59]             // in0 && in1
_v_add_lshl_u32 v10, v2, v0, 0x1                   // scaleToBpe: accumulate d0 lower and *= bpe into Cin addr
v_cndmask_b32 v10, -1, v10, s[58:59]               // LDC clip if OOB. offset
_buffer_load_b64 v[12:13], v10, s[sgprSrdC:sgprSrdC+3], 0, offen offset:0,  sc0 sc1 // load C for beta calc
_v_add_lshl_u32 v10, v3, v0, 0x1                   // scaleToBpe: accumulate d0 lower and *= bpe into Cin addr
v_cndmask_b32 v10, -1, v10, s[58:59]               // LDD clip if OOB. offset
/* (d1,vc1,d0,vc0)=(8,1,0,0) */
_v_add_co_u32 v1, vcc, v1, 1                       // coord1.1: coord1Vgpr += d1*sg1*VW + vc1

/* Fix for UseInitialStridesCD, emitAddressSetupCode */
_v_add_u32 v2, v2, s[sgprStrideC1J]                // ROWINC- Move cinRowPtr to next row
_v_add_u32 v3, v3, s[sgprStrideD1J]                // Move coutRowPtr to next row
v_cmp_lt_u32 s[54:55], v0, s[sgprSizeI]            // coord0 < size0
v_cmp_lt_u32 s[58:59], v1, s[sgprSizeJ]            // coord1 < size1
s_and_b64 s[58:59], s[54:55], s[58:59]             // in0 && in1
_v_add_lshl_u32 v11, v2, v0, 0x1                   // scaleToBpe: accumulate d0 lower and *= bpe into Cin addr
v_cndmask_b32 v11, -1, v11, s[58:59]               // LDC clip if OOB. offset
_buffer_load_b64 v[14:15], v11, s[sgprSrdC:sgprSrdC+3], 0, offen offset:0,  sc0 sc1 // load C for beta calc
_v_add_lshl_u32 v11, v3, v0, 0x1                   // scaleToBpe: accumulate d0 lower and *= bpe into Cin addr
v_cndmask_b32 v11, -1, v11, s[58:59]               // LDD clip if OOB. offset
/* (d1,vc1,d0,vc0)=(8,2,0,0) */
_v_add_co_u32 v1, vcc, v1, 1                       // coord1.1: coord1Vgpr += d1*sg1*VW + vc1

/* Fix for UseInitialStridesCD, emitAddressSetupCode */
_v_add_u32 v2, v2, s[sgprStrideC1J]                // ROWINC- Move cinRowPtr to next row
_v_add_u32 v3, v3, s[sgprStrideD1J]                // Move coutRowPtr to next row
v_cmp_lt_u32 s[54:55], v0, s[sgprSizeI]            // coord0 < size0
v_cmp_lt_u32 s[58:59], v1, s[sgprSizeJ]            // coord1 < size1
s_and_b64 s[58:59], s[54:55], s[58:59]             // in0 && in1
_v_add_lshl_u32 v24, v2, v0, 0x1                   // scaleToBpe: accumulate d0 lower and *= bpe into Cin addr
v_cndmask_b32 v24, -1, v24, s[58:59]               // LDC clip if OOB. offset
_buffer_load_b64 v[26:27], v24, s[sgprSrdC:sgprSrdC+3], 0, offen offset:0,  sc0 sc1 // load C for beta calc
_v_add_lshl_u32 v24, v3, v0, 0x1                   // scaleToBpe: accumulate d0 lower and *= bpe into Cin addr
v_cndmask_b32 v24, -1, v24, s[58:59]               // LDD clip if OOB. offset
/* (d1,vc1,d0,vc0)=(8,3,0,0) */
_v_add_co_u32 v1, vcc, v1, 1                       // coord1.1: coord1Vgpr += d1*sg1*VW + vc1

/* Fix for UseInitialStridesCD, emitAddressSetupCode */
_v_add_u32 v2, v2, s[sgprStrideC1J]                // ROWINC- Move cinRowPtr to next row
_v_add_u32 v3, v3, s[sgprStrideD1J]                // Move coutRowPtr to next row
v_cmp_lt_u32 s[54:55], v0, s[sgprSizeI]            // coord0 < size0
v_cmp_lt_u32 s[58:59], v1, s[sgprSizeJ]            // coord1 < size1
s_and_b64 s[58:59], s[54:55], s[58:59]             // in0 && in1
_v_add_lshl_u32 v25, v2, v0, 0x1                   // scaleToBpe: accumulate d0 lower and *= bpe into Cin addr
v_cndmask_b32 v25, -1, v25, s[58:59]               // LDC clip if OOB. offset
_buffer_load_b64 v[32:33], v25, s[sgprSrdC:sgprSrdC+3], 0, offen offset:0,  sc0 sc1 // load C for beta calc
_v_add_lshl_u32 v25, v3, v0, 0x1                   // scaleToBpe: accumulate d0 lower and *= bpe into Cin addr
v_cndmask_b32 v25, -1, v25, s[58:59]               // LDD clip if OOB. offset
/* (d1,vc1,d0,vc0)=(9,0,0,0) */
_v_add_co_u32 v1, vcc, v1, 13                      // coord1.1: coord1Vgpr += d1*sg1*VW + vc1

/* Fix for UseInitialStridesCD, emitAddressSetupCode */
s_mul_i32 s54, s[sgprStrideC1J], 13                // scale stride
_v_add_u32 v2, v2, s54                             // ROWINC- Move cinRowPtr to next row
s_mul_i32 s54, s[sgprStrideD1J], 13                // scale stride
_v_add_u32 v3, v3, s54                             // Move coutRowPtr to next row
v_cmp_lt_u32 s[54:55], v0, s[sgprSizeI]            // coord0 < size0
v_cmp_lt_u32 s[58:59], v1, s[sgprSizeJ]            // coord1 < size1
s_and_b64 s[58:59], s[54:55], s[58:59]             // in0 && in1
_v_add_lshl_u32 v34, v2, v0, 0x1                   // scaleToBpe: accumulate d0 lower and *= bpe into Cin addr
v_cndmask_b32 v34, -1, v34, s[58:59]               // LDC clip if OOB. offset
_buffer_load_b64 v[40:41], v34, s[sgprSrdC:sgprSrdC+3], 0, offen offset:0,  sc0 sc1 // load C for beta calc
_v_add_lshl_u32 v34, v3, v0, 0x1                   // scaleToBpe: accumulate d0 lower and *= bpe into Cin addr
v_cndmask_b32 v34, -1, v34, s[58:59]               // LDD clip if OOB. offset
/* (d1,vc1,d0,vc0)=(9,1,0,0) */
_v_add_co_u32 v1, vcc, v1, 1                       // coord1.1: coord1Vgpr += d1*sg1*VW + vc1

/* Fix for UseInitialStridesCD, emitAddressSetupCode */
_v_add_u32 v2, v2, s[sgprStrideC1J]                // ROWINC- Move cinRowPtr to next row
_v_add_u32 v3, v3, s[sgprStrideD1J]                // Move coutRowPtr to next row
v_cmp_lt_u32 s[54:55], v0, s[sgprSizeI]            // coord0 < size0
v_cmp_lt_u32 s[58:59], v1, s[sgprSizeJ]            // coord1 < size1
s_and_b64 s[58:59], s[54:55], s[58:59]             // in0 && in1
_v_add_lshl_u32 v35, v2, v0, 0x1                   // scaleToBpe: accumulate d0 lower and *= bpe into Cin addr
v_cndmask_b32 v35, -1, v35, s[58:59]               // LDC clip if OOB. offset
_buffer_load_b64 v[42:43], v35, s[sgprSrdC:sgprSrdC+3], 0, offen offset:0,  sc0 sc1 // load C for beta calc
_v_add_lshl_u32 v35, v3, v0, 0x1                   // scaleToBpe: accumulate d0 lower and *= bpe into Cin addr
v_cndmask_b32 v35, -1, v35, s[58:59]               // LDD clip if OOB. offset
/* (d1,vc1,d0,vc0)=(9,2,0,0) */
_v_add_co_u32 v1, vcc, v1, 1                       // coord1.1: coord1Vgpr += d1*sg1*VW + vc1

/* Fix for UseInitialStridesCD, emitAddressSetupCode */
_v_add_u32 v2, v2, s[sgprStrideC1J]                // ROWINC- Move cinRowPtr to next row
_v_add_u32 v3, v3, s[sgprStrideD1J]                // Move coutRowPtr to next row
v_cmp_lt_u32 s[54:55], v0, s[sgprSizeI]            // coord0 < size0
v_cmp_lt_u32 s[58:59], v1, s[sgprSizeJ]            // coord1 < size1
s_and_b64 s[58:59], s[54:55], s[58:59]             // in0 && in1
_v_add_lshl_u32 v52, v2, v0, 0x1                   // scaleToBpe: accumulate d0 lower and *= bpe into Cin addr
v_cndmask_b32 v52, -1, v52, s[58:59]               // LDC clip if OOB. offset
_buffer_load_b64 v[54:55], v52, s[sgprSrdC:sgprSrdC+3], 0, offen offset:0,  sc0 sc1 // load C for beta calc
_v_add_lshl_u32 v52, v3, v0, 0x1                   // scaleToBpe: accumulate d0 lower and *= bpe into Cin addr
v_cndmask_b32 v52, -1, v52, s[58:59]               // LDD clip if OOB. offset
/* (d1,vc1,d0,vc0)=(9,3,0,0) */
_v_add_co_u32 v1, vcc, v1, 1                       // coord1.1: coord1Vgpr += d1*sg1*VW + vc1

/* Fix for UseInitialStridesCD, emitAddressSetupCode */
_v_add_u32 v2, v2, s[sgprStrideC1J]                // ROWINC- Move cinRowPtr to next row
_v_add_u32 v3, v3, s[sgprStrideD1J]                // Move coutRowPtr to next row
v_cmp_lt_u32 s[54:55], v0, s[sgprSizeI]            // coord0 < size0
v_cmp_lt_u32 s[58:59], v1, s[sgprSizeJ]            // coord1 < size1
s_and_b64 s[58:59], s[54:55], s[58:59]             // in0 && in1
_v_add_lshl_u32 v53, v2, v0, 0x1                   // scaleToBpe: accumulate d0 lower and *= bpe into Cin addr
v_cndmask_b32 v53, -1, v53, s[58:59]               // LDC clip if OOB. offset
_buffer_load_b64 v[60:61], v53, s[sgprSrdC:sgprSrdC+3], 0, offen offset:0,  sc0 sc1 // load C for beta calc
_v_add_lshl_u32 v53, v3, v0, 0x1                   // scaleToBpe: accumulate d0 lower and *= bpe into Cin addr
v_cndmask_b32 v53, -1, v53, s[58:59]               // LDD clip if OOB. offset
	;; [unrolled: 58-line block ×3, first 2 shown]
/* (d1,vc1,d0,vc0)=(11,0,0,0) */
_v_add_co_u32 v1, vcc, v1, 13                      // coord1.1: coord1Vgpr += d1*sg1*VW + vc1

/* Fix for UseInitialStridesCD, emitAddressSetupCode */
s_mul_i32 s54, s[sgprStrideC1J], 13                // scale stride
_v_add_u32 v2, v2, s54                             // ROWINC- Move cinRowPtr to next row
s_mul_i32 s54, s[sgprStrideD1J], 13                // scale stride
_v_add_u32 v3, v3, s54                             // Move coutRowPtr to next row
v_cmp_lt_u32 s[54:55], v0, s[sgprSizeI]            // coord0 < size0
v_cmp_lt_u32 s[58:59], v1, s[sgprSizeJ]            // coord1 < size1
s_and_b64 s[58:59], s[54:55], s[58:59]             // in0 && in1
_v_add_lshl_u32 v90, v2, v0, 0x1                   // scaleToBpe: accumulate d0 lower and *= bpe into Cin addr
v_cndmask_b32 v90, -1, v90, s[58:59]               // LDC clip if OOB. offset
_buffer_load_b64 v[96:97], v90, s[sgprSrdC:sgprSrdC+3], 0, offen offset:0,  sc0 sc1 // load C for beta calc
_v_add_lshl_u32 v90, v3, v0, 0x1                   // scaleToBpe: accumulate d0 lower and *= bpe into Cin addr
v_cndmask_b32 v90, -1, v90, s[58:59]               // LDD clip if OOB. offset
/* (d1,vc1,d0,vc0)=(11,1,0,0) */
_v_add_co_u32 v1, vcc, v1, 1                       // coord1.1: coord1Vgpr += d1*sg1*VW + vc1

/* Fix for UseInitialStridesCD, emitAddressSetupCode */
_v_add_u32 v2, v2, s[sgprStrideC1J]                // ROWINC- Move cinRowPtr to next row
_v_add_u32 v3, v3, s[sgprStrideD1J]                // Move coutRowPtr to next row
v_cmp_lt_u32 s[54:55], v0, s[sgprSizeI]            // coord0 < size0
v_cmp_lt_u32 s[58:59], v1, s[sgprSizeJ]            // coord1 < size1
s_and_b64 s[58:59], s[54:55], s[58:59]             // in0 && in1
_v_add_lshl_u32 v91, v2, v0, 0x1                   // scaleToBpe: accumulate d0 lower and *= bpe into Cin addr
v_cndmask_b32 v91, -1, v91, s[58:59]               // LDC clip if OOB. offset
_buffer_load_b64 v[98:99], v91, s[sgprSrdC:sgprSrdC+3], 0, offen offset:0,  sc0 sc1 // load C for beta calc
_v_add_lshl_u32 v91, v3, v0, 0x1                   // scaleToBpe: accumulate d0 lower and *= bpe into Cin addr
v_cndmask_b32 v91, -1, v91, s[58:59]               // LDD clip if OOB. offset
/* (d1,vc1,d0,vc0)=(11,2,0,0) */
_v_add_co_u32 v1, vcc, v1, 1                       // coord1.1: coord1Vgpr += d1*sg1*VW + vc1

/* Fix for UseInitialStridesCD, emitAddressSetupCode */
_v_add_u32 v2, v2, s[sgprStrideC1J]                // ROWINC- Move cinRowPtr to next row
_v_add_u32 v3, v3, s[sgprStrideD1J]                // Move coutRowPtr to next row
v_cmp_lt_u32 s[54:55], v0, s[sgprSizeI]            // coord0 < size0
v_cmp_lt_u32 s[58:59], v1, s[sgprSizeJ]            // coord1 < size1
s_and_b64 s[58:59], s[54:55], s[58:59]             // in0 && in1
_v_add_lshl_u32 v108, v2, v0, 0x1                  // scaleToBpe: accumulate d0 lower and *= bpe into Cin addr
v_cndmask_b32 v108, -1, v108, s[58:59]             // LDC clip if OOB. offset
_buffer_load_b64 v[110:111], v108, s[sgprSrdC:sgprSrdC+3], 0, offen offset:0,  sc0 sc1 // load C for beta calc
_v_add_lshl_u32 v108, v3, v0, 0x1                  // scaleToBpe: accumulate d0 lower and *= bpe into Cin addr
v_cndmask_b32 v108, -1, v108, s[58:59]             // LDD clip if OOB. offset
/* (d1,vc1,d0,vc0)=(11,3,0,0) */
_v_add_co_u32 v1, vcc, v1, 1                       // coord1.1: coord1Vgpr += d1*sg1*VW + vc1

/* Fix for UseInitialStridesCD, emitAddressSetupCode */
_v_add_u32 v2, v2, s[sgprStrideC1J]                // ROWINC- Move cinRowPtr to next row
_v_add_u32 v3, v3, s[sgprStrideD1J]                // Move coutRowPtr to next row
v_cmp_lt_u32 s[54:55], v0, s[sgprSizeI]            // coord0 < size0
v_cmp_lt_u32 s[58:59], v1, s[sgprSizeJ]            // coord1 < size1
s_and_b64 s[58:59], s[54:55], s[58:59]             // in0 && in1
_v_add_lshl_u32 v109, v2, v0, 0x1                  // scaleToBpe: accumulate d0 lower and *= bpe into Cin addr
v_cndmask_b32 v109, -1, v109, s[58:59]             // LDC clip if OOB. offset
_buffer_load_b64 v[116:117], v109, s[sgprSrdC:sgprSrdC+3], 0, offen offset:0,  sc0 sc1 // load C for beta calc
_v_add_lshl_u32 v109, v3, v0, 0x1                  // scaleToBpe: accumulate d0 lower and *= bpe into Cin addr
v_cndmask_b32 v109, -1, v109, s[58:59]             // LDD clip if OOB. offset
/* (d1,vc1,d0,vc0)=(12,0,0,0) */
_v_add_co_u32 v1, vcc, v1, 13                      // coord1.1: coord1Vgpr += d1*sg1*VW + vc1

/* Fix for UseInitialStridesCD, emitAddressSetupCode */
s_mul_i32 s54, s[sgprStrideC1J], 13                // scale stride
_v_add_u32 v2, v2, s54                             // ROWINC- Move cinRowPtr to next row
s_mul_i32 s54, s[sgprStrideD1J], 13                // scale stride
_v_add_u32 v3, v3, s54                             // Move coutRowPtr to next row
v_cmp_lt_u32 s[54:55], v0, s[sgprSizeI]            // coord0 < size0
v_cmp_lt_u32 s[58:59], v1, s[sgprSizeJ]            // coord1 < size1
s_and_b64 s[58:59], s[54:55], s[58:59]             // in0 && in1
_v_add_lshl_u32 v118, v2, v0, 0x1                  // scaleToBpe: accumulate d0 lower and *= bpe into Cin addr
v_cndmask_b32 v118, -1, v118, s[58:59]             // LDC clip if OOB. offset
_buffer_load_b64 v[124:125], v118, s[sgprSrdC:sgprSrdC+3], 0, offen offset:0,  sc0 sc1 // load C for beta calc
_v_add_lshl_u32 v118, v3, v0, 0x1                  // scaleToBpe: accumulate d0 lower and *= bpe into Cin addr
v_cndmask_b32 v118, -1, v118, s[58:59]             // LDD clip if OOB. offset
/* (d1,vc1,d0,vc0)=(12,1,0,0) */
_v_add_co_u32 v1, vcc, v1, 1                       // coord1.1: coord1Vgpr += d1*sg1*VW + vc1

/* Fix for UseInitialStridesCD, emitAddressSetupCode */
_v_add_u32 v2, v2, s[sgprStrideC1J]                // ROWINC- Move cinRowPtr to next row
_v_add_u32 v3, v3, s[sgprStrideD1J]                // Move coutRowPtr to next row
v_cmp_lt_u32 s[54:55], v0, s[sgprSizeI]            // coord0 < size0
v_cmp_lt_u32 s[58:59], v1, s[sgprSizeJ]            // coord1 < size1
s_and_b64 s[58:59], s[54:55], s[58:59]             // in0 && in1
_v_add_lshl_u32 v119, v2, v0, 0x1                  // scaleToBpe: accumulate d0 lower and *= bpe into Cin addr
v_cndmask_b32 v119, -1, v119, s[58:59]             // LDC clip if OOB. offset
_buffer_load_b64 v[126:127], v119, s[sgprSrdC:sgprSrdC+3], 0, offen offset:0,  sc0 sc1 // load C for beta calc
_v_add_lshl_u32 v119, v3, v0, 0x1                  // scaleToBpe: accumulate d0 lower and *= bpe into Cin addr
v_cndmask_b32 v119, -1, v119, s[58:59]             // LDD clip if OOB. offset
/* (d1,vc1,d0,vc0)=(12,2,0,0) */
_v_add_co_u32 v1, vcc, v1, 1                       // coord1.1: coord1Vgpr += d1*sg1*VW + vc1

/* Fix for UseInitialStridesCD, emitAddressSetupCode */
_v_add_u32 v2, v2, s[sgprStrideC1J]                // ROWINC- Move cinRowPtr to next row
_v_add_u32 v3, v3, s[sgprStrideD1J]                // Move coutRowPtr to next row
v_cmp_lt_u32 s[54:55], v0, s[sgprSizeI]            // coord0 < size0
v_cmp_lt_u32 s[58:59], v1, s[sgprSizeJ]            // coord1 < size1
s_and_b64 s[58:59], s[54:55], s[58:59]             // in0 && in1
_v_add_lshl_u32 v136, v2, v0, 0x1                  // scaleToBpe: accumulate d0 lower and *= bpe into Cin addr
v_cndmask_b32 v136, -1, v136, s[58:59]             // LDC clip if OOB. offset
_buffer_load_b64 v[138:139], v136, s[sgprSrdC:sgprSrdC+3], 0, offen offset:0,  sc0 sc1 // load C for beta calc
_v_add_lshl_u32 v136, v3, v0, 0x1                  // scaleToBpe: accumulate d0 lower and *= bpe into Cin addr
v_cndmask_b32 v136, -1, v136, s[58:59]             // LDD clip if OOB. offset
/* (d1,vc1,d0,vc0)=(12,3,0,0) */
_v_add_co_u32 v1, vcc, v1, 1                       // coord1.1: coord1Vgpr += d1*sg1*VW + vc1

/* Fix for UseInitialStridesCD, emitAddressSetupCode */
_v_add_u32 v2, v2, s[sgprStrideC1J]                // ROWINC- Move cinRowPtr to next row
_v_add_u32 v3, v3, s[sgprStrideD1J]                // Move coutRowPtr to next row
v_cmp_lt_u32 s[54:55], v0, s[sgprSizeI]            // coord0 < size0
v_cmp_lt_u32 s[58:59], v1, s[sgprSizeJ]            // coord1 < size1
s_and_b64 s[58:59], s[54:55], s[58:59]             // in0 && in1
_v_add_lshl_u32 v137, v2, v0, 0x1                  // scaleToBpe: accumulate d0 lower and *= bpe into Cin addr
v_cndmask_b32 v137, -1, v137, s[58:59]             // LDC clip if OOB. offset
_buffer_load_b64 v[144:145], v137, s[sgprSrdC:sgprSrdC+3], 0, offen offset:0,  sc0 sc1 // load C for beta calc
_v_add_lshl_u32 v137, v3, v0, 0x1                  // scaleToBpe: accumulate d0 lower and *= bpe into Cin addr
v_cndmask_b32 v137, -1, v137, s[58:59]             // LDD clip if OOB. offset
/* (d1,vc1,d0,vc0)=(13,0,0,0) */
_v_add_co_u32 v1, vcc, v1, 13                      // coord1.1: coord1Vgpr += d1*sg1*VW + vc1

/* Fix for UseInitialStridesCD, emitAddressSetupCode */
s_mul_i32 s54, s[sgprStrideC1J], 13                // scale stride
_v_add_u32 v2, v2, s54                             // ROWINC- Move cinRowPtr to next row
s_mul_i32 s54, s[sgprStrideD1J], 13                // scale stride
_v_add_u32 v3, v3, s54                             // Move coutRowPtr to next row
v_cmp_lt_u32 s[54:55], v0, s[sgprSizeI]            // coord0 < size0
v_cmp_lt_u32 s[58:59], v1, s[sgprSizeJ]            // coord1 < size1
s_and_b64 s[58:59], s[54:55], s[58:59]             // in0 && in1
_v_add_lshl_u32 v146, v2, v0, 0x1                  // scaleToBpe: accumulate d0 lower and *= bpe into Cin addr
v_cndmask_b32 v146, -1, v146, s[58:59]             // LDC clip if OOB. offset
_buffer_load_b64 v[152:153], v146, s[sgprSrdC:sgprSrdC+3], 0, offen offset:0,  sc0 sc1 // load C for beta calc
_v_add_lshl_u32 v146, v3, v0, 0x1                  // scaleToBpe: accumulate d0 lower and *= bpe into Cin addr
v_cndmask_b32 v146, -1, v146, s[58:59]             // LDD clip if OOB. offset
/* (d1,vc1,d0,vc0)=(13,1,0,0) */
_v_add_co_u32 v1, vcc, v1, 1                       // coord1.1: coord1Vgpr += d1*sg1*VW + vc1

/* Fix for UseInitialStridesCD, emitAddressSetupCode */
_v_add_u32 v2, v2, s[sgprStrideC1J]                // ROWINC- Move cinRowPtr to next row
_v_add_u32 v3, v3, s[sgprStrideD1J]                // Move coutRowPtr to next row
v_cmp_lt_u32 s[54:55], v0, s[sgprSizeI]            // coord0 < size0
v_cmp_lt_u32 s[58:59], v1, s[sgprSizeJ]            // coord1 < size1
s_and_b64 s[58:59], s[54:55], s[58:59]             // in0 && in1
_v_add_lshl_u32 v147, v2, v0, 0x1                  // scaleToBpe: accumulate d0 lower and *= bpe into Cin addr
v_cndmask_b32 v147, -1, v147, s[58:59]             // LDC clip if OOB. offset
_buffer_load_b64 v[154:155], v147, s[sgprSrdC:sgprSrdC+3], 0, offen offset:0,  sc0 sc1 // load C for beta calc
_v_add_lshl_u32 v147, v3, v0, 0x1                  // scaleToBpe: accumulate d0 lower and *= bpe into Cin addr
v_cndmask_b32 v147, -1, v147, s[58:59]             // LDD clip if OOB. offset
/* (d1,vc1,d0,vc0)=(13,2,0,0) */
_v_add_co_u32 v1, vcc, v1, 1                       // coord1.1: coord1Vgpr += d1*sg1*VW + vc1

/* Fix for UseInitialStridesCD, emitAddressSetupCode */
_v_add_u32 v2, v2, s[sgprStrideC1J]                // ROWINC- Move cinRowPtr to next row
_v_add_u32 v3, v3, s[sgprStrideD1J]                // Move coutRowPtr to next row
	;; [unrolled: 14-line block ×3, first 2 shown]
v_cmp_lt_u32 s[54:55], v0, s[sgprSizeI]            // coord0 < size0
v_cmp_lt_u32 s[58:59], v1, s[sgprSizeJ]            // coord1 < size1
s_and_b64 s[58:59], s[54:55], s[58:59]             // in0 && in1
_v_add_lshl_u32 v165, v2, v0, 0x1                  // scaleToBpe: accumulate d0 lower and *= bpe into Cin addr
v_cndmask_b32 v165, -1, v165, s[58:59]             // LDC clip if OOB. offset
_buffer_load_b64 v[172:173], v165, s[sgprSrdC:sgprSrdC+3], 0, offen offset:0,  sc0 sc1 // load C for beta calc
_v_add_lshl_u32 v165, v3, v0, 0x1                  // scaleToBpe: accumulate d0 lower and *= bpe into Cin addr
v_cndmask_b32 v165, -1, v165, s[58:59]             // LDD clip if OOB. offset
v_accvgpr_read_b32 v[vgprValuC+16], acc128 // copy acc to vreg[128]
v_accvgpr_read_b32 v[vgprValuC+17], acc132 // copy acc to vreg[129]
v_accvgpr_read_b32 v[vgprValuC+18], acc136 // copy acc to vreg[130]
v_accvgpr_read_b32 v[vgprValuC+19], acc140 // copy acc to vreg[131]
v_accvgpr_read_b32 v[vgprValuC+20], acc129 // copy acc to vreg[132]
v_accvgpr_read_b32 v[vgprValuC+21], acc133 // copy acc to vreg[133]
v_accvgpr_read_b32 v[vgprValuC+22], acc137 // copy acc to vreg[134]
v_accvgpr_read_b32 v[vgprValuC+23], acc141 // copy acc to vreg[135]
v_accvgpr_read_b32 v[vgprValuC+28], acc130 // copy acc to vreg[136]
v_accvgpr_read_b32 v[vgprValuC+29], acc134 // copy acc to vreg[137]
v_accvgpr_read_b32 v[vgprValuC+30], acc138 // copy acc to vreg[138]
v_accvgpr_read_b32 v[vgprValuC+31], acc142 // copy acc to vreg[139]
v_accvgpr_read_b32 v[vgprValuC+36], acc131 // copy acc to vreg[140]
v_accvgpr_read_b32 v[vgprValuC+37], acc135 // copy acc to vreg[141]
v_accvgpr_read_b32 v[vgprValuC+38], acc139 // copy acc to vreg[142]
v_accvgpr_read_b32 v[vgprValuC+39], acc143 // copy acc to vreg[143]
v_accvgpr_read_b32 v[vgprValuC+44], acc144 // copy acc to vreg[144]
v_accvgpr_read_b32 v[vgprValuC+45], acc148 // copy acc to vreg[145]
v_accvgpr_read_b32 v[vgprValuC+46], acc152 // copy acc to vreg[146]
v_accvgpr_read_b32 v[vgprValuC+47], acc156 // copy acc to vreg[147]
v_accvgpr_read_b32 v[vgprValuC+48], acc145 // copy acc to vreg[148]
v_accvgpr_read_b32 v[vgprValuC+49], acc149 // copy acc to vreg[149]
v_accvgpr_read_b32 v[vgprValuC+50], acc153 // copy acc to vreg[150]
v_accvgpr_read_b32 v[vgprValuC+51], acc157 // copy acc to vreg[151]
v_accvgpr_read_b32 v[vgprValuC+56], acc146 // copy acc to vreg[152]
v_accvgpr_read_b32 v[vgprValuC+57], acc150 // copy acc to vreg[153]
v_accvgpr_read_b32 v[vgprValuC+58], acc154 // copy acc to vreg[154]
v_accvgpr_read_b32 v[vgprValuC+59], acc158 // copy acc to vreg[155]
v_accvgpr_read_b32 v[vgprValuC+64], acc147 // copy acc to vreg[156]
v_accvgpr_read_b32 v[vgprValuC+65], acc151 // copy acc to vreg[157]
v_accvgpr_read_b32 v[vgprValuC+66], acc155 // copy acc to vreg[158]
v_accvgpr_read_b32 v[vgprValuC+67], acc159 // copy acc to vreg[159]
v_accvgpr_read_b32 v[vgprValuC+72], acc160 // copy acc to vreg[160]
v_accvgpr_read_b32 v[vgprValuC+73], acc164 // copy acc to vreg[161]
v_accvgpr_read_b32 v[vgprValuC+74], acc168 // copy acc to vreg[162]
v_accvgpr_read_b32 v[vgprValuC+75], acc172 // copy acc to vreg[163]
v_accvgpr_read_b32 v[vgprValuC+76], acc161 // copy acc to vreg[164]
v_accvgpr_read_b32 v[vgprValuC+77], acc165 // copy acc to vreg[165]
v_accvgpr_read_b32 v[vgprValuC+78], acc169 // copy acc to vreg[166]
v_accvgpr_read_b32 v[vgprValuC+79], acc173 // copy acc to vreg[167]
v_accvgpr_read_b32 v[vgprValuC+84], acc162 // copy acc to vreg[168]
v_accvgpr_read_b32 v[vgprValuC+85], acc166 // copy acc to vreg[169]
v_accvgpr_read_b32 v[vgprValuC+86], acc170 // copy acc to vreg[170]
v_accvgpr_read_b32 v[vgprValuC+87], acc174 // copy acc to vreg[171]
v_accvgpr_read_b32 v[vgprValuC+92], acc163 // copy acc to vreg[172]
v_accvgpr_read_b32 v[vgprValuC+93], acc167 // copy acc to vreg[173]
v_accvgpr_read_b32 v[vgprValuC+94], acc171 // copy acc to vreg[174]
v_accvgpr_read_b32 v[vgprValuC+95], acc175 // copy acc to vreg[175]
v_accvgpr_read_b32 v[vgprValuC+100], acc176 // copy acc to vreg[176]
v_accvgpr_read_b32 v[vgprValuC+101], acc180 // copy acc to vreg[177]
v_accvgpr_read_b32 v[vgprValuC+102], acc184 // copy acc to vreg[178]
v_accvgpr_read_b32 v[vgprValuC+103], acc188 // copy acc to vreg[179]
v_accvgpr_read_b32 v[vgprValuC+104], acc177 // copy acc to vreg[180]
v_accvgpr_read_b32 v[vgprValuC+105], acc181 // copy acc to vreg[181]
v_accvgpr_read_b32 v[vgprValuC+106], acc185 // copy acc to vreg[182]
v_accvgpr_read_b32 v[vgprValuC+107], acc189 // copy acc to vreg[183]
v_accvgpr_read_b32 v[vgprValuC+112], acc178 // copy acc to vreg[184]
v_accvgpr_read_b32 v[vgprValuC+113], acc182 // copy acc to vreg[185]
v_accvgpr_read_b32 v[vgprValuC+114], acc186 // copy acc to vreg[186]
v_accvgpr_read_b32 v[vgprValuC+115], acc190 // copy acc to vreg[187]
v_accvgpr_read_b32 v[vgprValuC+120], acc179 // copy acc to vreg[188]
v_accvgpr_read_b32 v[vgprValuC+121], acc183 // copy acc to vreg[189]
v_accvgpr_read_b32 v[vgprValuC+122], acc187 // copy acc to vreg[190]
v_accvgpr_read_b32 v[vgprValuC+123], acc191 // copy acc to vreg[191]
v_accvgpr_read_b32 v[vgprValuC+128], acc192 // copy acc to vreg[192]
v_accvgpr_read_b32 v[vgprValuC+129], acc196 // copy acc to vreg[193]
v_accvgpr_read_b32 v[vgprValuC+130], acc200 // copy acc to vreg[194]
v_accvgpr_read_b32 v[vgprValuC+131], acc204 // copy acc to vreg[195]
v_accvgpr_read_b32 v[vgprValuC+132], acc193 // copy acc to vreg[196]
v_accvgpr_read_b32 v[vgprValuC+133], acc197 // copy acc to vreg[197]
v_accvgpr_read_b32 v[vgprValuC+134], acc201 // copy acc to vreg[198]
v_accvgpr_read_b32 v[vgprValuC+135], acc205 // copy acc to vreg[199]
v_accvgpr_read_b32 v[vgprValuC+140], acc194 // copy acc to vreg[200]
v_accvgpr_read_b32 v[vgprValuC+141], acc198 // copy acc to vreg[201]
v_accvgpr_read_b32 v[vgprValuC+142], acc202 // copy acc to vreg[202]
v_accvgpr_read_b32 v[vgprValuC+143], acc206 // copy acc to vreg[203]
v_accvgpr_read_b32 v[vgprValuC+148], acc195 // copy acc to vreg[204]
v_accvgpr_read_b32 v[vgprValuC+149], acc199 // copy acc to vreg[205]
v_accvgpr_read_b32 v[vgprValuC+150], acc203 // copy acc to vreg[206]
v_accvgpr_read_b32 v[vgprValuC+151], acc207 // copy acc to vreg[207]
v_accvgpr_read_b32 v[vgprValuC+156], acc208 // copy acc to vreg[208]
v_accvgpr_read_b32 v[vgprValuC+157], acc212 // copy acc to vreg[209]
v_accvgpr_read_b32 v[vgprValuC+158], acc216 // copy acc to vreg[210]
v_accvgpr_read_b32 v[vgprValuC+159], acc220 // copy acc to vreg[211]
v_accvgpr_read_b32 v[vgprValuC+160], acc209 // copy acc to vreg[212]
v_accvgpr_read_b32 v[vgprValuC+161], acc213 // copy acc to vreg[213]
v_accvgpr_read_b32 v[vgprValuC+162], acc217 // copy acc to vreg[214]
v_accvgpr_read_b32 v[vgprValuC+163], acc221 // copy acc to vreg[215]
v_accvgpr_read_b32 v[vgprValuC+168], acc210 // copy acc to vreg[216]
v_accvgpr_read_b32 v[vgprValuC+169], acc214 // copy acc to vreg[217]
v_accvgpr_read_b32 v[vgprValuC+170], acc218 // copy acc to vreg[218]
v_accvgpr_read_b32 v[vgprValuC+171], acc222 // copy acc to vreg[219]
v_accvgpr_read_b32 v[vgprValuC+176], acc211 // copy acc to vreg[220]
v_accvgpr_read_b32 v[vgprValuC+177], acc215 // copy acc to vreg[221]
v_accvgpr_read_b32 v[vgprValuC+178], acc219 // copy acc to vreg[222]
v_accvgpr_read_b32 v[vgprValuC+179], acc223 // copy acc to vreg[223]
s_nop 1                                            // 2 wait states required before reading vgpr

/* rC *= alpha batchElements=[(8, 0, 0, 0), (8, 0, 1, 0), (8, 0, 2, 0), (8, 0, 3, 0), (9, 0, 0, 0), (9, 0, 1, 0), (9, 0, 2, 0), (9, 0, 3, 0), (10, 0, 0, 0), (10, 0, 1, 0), (10, 0, 2, 0), (10, 0, 3, 0), (11, 0, 0, 0), (11, 0, 1, 0), (11, 0, 2, 0), (11, 0, 3, 0), (12, 0, 0, 0), (12, 0, 1, 0), (12, 0, 2, 0), (12, 0, 3, 0), (13, 0, 0, 0), (13, 0, 1, 0), (13, 0, 2, 0), (13, 0, 3, 0)] */
v_mul_f32 v[vgprValuC+16], s[sgprAlpha], v[vgprValuC+16] // *= alpha
v_mul_f32 v[vgprValuC+17], s[sgprAlpha], v[vgprValuC+17] // *= alpha
	;; [unrolled: 1-line block ×96, first 2 shown]
s_waitcnt vmcnt(0)                                 // wait C

/* apply mask, calc new C and issue writes */
v_mov_b32 v7, 0xffff0000                           // mask for pack two bfloat16 element to 32bit
v_mov_b32 v8, 0x7fff0000                           // fp32 Nan
v_mov_b32 v9, 0x7fff                               // rounding bias for bfloat16
v_lshlrev_b32 v4, 16, v12                          // convert bf16 to fp32
_v_mac_f32 v[vgprValuC+16], v4, s[sgprBeta]        // finalSum = sum*alpha + C*beta
v_and_b32 v4, v12, v7                              // convert bf16 to fp32
_v_mac_f32 v[vgprValuC+17], v4, s[sgprBeta]        // finalSum = sum*alpha + C*beta
v_lshlrev_b32 v4, 16, v13                          // convert bf16 to fp32
_v_mac_f32 v[vgprValuC+18], v4, s[sgprBeta]        // finalSum = sum*alpha + C*beta
v_and_b32 v4, v13, v7                              // convert bf16 to fp32
_v_mac_f32 v[vgprValuC+19], v4, s[sgprBeta]        // finalSum = sum*alpha + C*beta
v_cmp_u_f32 s[54:55], v[vgprValuC+16], v[vgprValuC+16] // check Nan
v_bfe_u32 v6, v[vgprValuC+16], 16, 1               // Non-Nan case: store lsb of bf16
v_add3_u32 v6, v[vgprValuC+16], v6, v9             // Non-Nan case: add lsb and the increment for rounding
v_cndmask_b32 v[vgprValuC+16], v6, v8, s[54:55]    // 
v_lshrrev_b32 v[vgprValuC+16], 16, v[vgprValuC+16] // convert C to bf16
v_cmp_u_f32 s[54:55], v[vgprValuC+17], v[vgprValuC+17] // check Nan
v_bfe_u32 v6, v[vgprValuC+17], 16, 1               // Non-Nan case: store lsb of bf16
v_add3_u32 v6, v[vgprValuC+17], v6, v9             // Non-Nan case: add lsb and the increment for rounding
v_cndmask_b32 v[vgprValuC+17], v6, v8, s[54:55]    // 
v_and_or_b32 v16, v[vgprValuC+17], v7, v[vgprValuC+16] // pack two bf16 to dword
v_cmp_u_f32 s[54:55], v[vgprValuC+18], v[vgprValuC+18] // check Nan
v_bfe_u32 v6, v[vgprValuC+18], 16, 1               // Non-Nan case: store lsb of bf16
v_add3_u32 v6, v[vgprValuC+18], v6, v9             // Non-Nan case: add lsb and the increment for rounding
v_cndmask_b32 v[vgprValuC+18], v6, v8, s[54:55]    // 
v_lshrrev_b32 v[vgprValuC+18], 16, v[vgprValuC+18] // convert C to bf16
v_cmp_u_f32 s[54:55], v[vgprValuC+19], v[vgprValuC+19] // check Nan
v_bfe_u32 v6, v[vgprValuC+19], 16, 1               // Non-Nan case: store lsb of bf16
v_add3_u32 v6, v[vgprValuC+19], v6, v9             // Non-Nan case: add lsb and the increment for rounding
v_cndmask_b32 v[vgprValuC+19], v6, v8, s[54:55]    // 
v_and_or_b32 v17, v[vgprValuC+19], v7, v[vgprValuC+18] // pack two bf16 to dword
_buffer_store_b64 v[16:17], v10, s[sgprSrdD:sgprSrdD+3], 0, offen, offset:0,  sc0 sc1 // store D
v_lshlrev_b32 v4, 16, v14                          // convert bf16 to fp32
_v_mac_f32 v[vgprValuC+20], v4, s[sgprBeta]        // finalSum = sum*alpha + C*beta
v_and_b32 v4, v14, v7                              // convert bf16 to fp32
_v_mac_f32 v[vgprValuC+21], v4, s[sgprBeta]        // finalSum = sum*alpha + C*beta
v_lshlrev_b32 v4, 16, v15                          // convert bf16 to fp32
_v_mac_f32 v[vgprValuC+22], v4, s[sgprBeta]        // finalSum = sum*alpha + C*beta
v_and_b32 v4, v15, v7                              // convert bf16 to fp32
_v_mac_f32 v[vgprValuC+23], v4, s[sgprBeta]        // finalSum = sum*alpha + C*beta
v_cmp_u_f32 s[54:55], v[vgprValuC+20], v[vgprValuC+20] // check Nan
v_bfe_u32 v6, v[vgprValuC+20], 16, 1               // Non-Nan case: store lsb of bf16
v_add3_u32 v6, v[vgprValuC+20], v6, v9             // Non-Nan case: add lsb and the increment for rounding
v_cndmask_b32 v[vgprValuC+20], v6, v8, s[54:55]    // 
v_lshrrev_b32 v[vgprValuC+20], 16, v[vgprValuC+20] // convert C to bf16
v_cmp_u_f32 s[54:55], v[vgprValuC+21], v[vgprValuC+21] // check Nan
v_bfe_u32 v6, v[vgprValuC+21], 16, 1               // Non-Nan case: store lsb of bf16
v_add3_u32 v6, v[vgprValuC+21], v6, v9             // Non-Nan case: add lsb and the increment for rounding
v_cndmask_b32 v[vgprValuC+21], v6, v8, s[54:55]    // 
v_and_or_b32 v20, v[vgprValuC+21], v7, v[vgprValuC+20] // pack two bf16 to dword
v_cmp_u_f32 s[54:55], v[vgprValuC+22], v[vgprValuC+22] // check Nan
v_bfe_u32 v6, v[vgprValuC+22], 16, 1               // Non-Nan case: store lsb of bf16
v_add3_u32 v6, v[vgprValuC+22], v6, v9             // Non-Nan case: add lsb and the increment for rounding
v_cndmask_b32 v[vgprValuC+22], v6, v8, s[54:55]    // 
v_lshrrev_b32 v[vgprValuC+22], 16, v[vgprValuC+22] // convert C to bf16
v_cmp_u_f32 s[54:55], v[vgprValuC+23], v[vgprValuC+23] // check Nan
v_bfe_u32 v6, v[vgprValuC+23], 16, 1               // Non-Nan case: store lsb of bf16
v_add3_u32 v6, v[vgprValuC+23], v6, v9             // Non-Nan case: add lsb and the increment for rounding
v_cndmask_b32 v[vgprValuC+23], v6, v8, s[54:55]    // 
v_and_or_b32 v21, v[vgprValuC+23], v7, v[vgprValuC+22] // pack two bf16 to dword
_buffer_store_b64 v[20:21], v11, s[sgprSrdD:sgprSrdD+3], 0, offen, offset:0,  sc0 sc1 // store D
	;; [unrolled: 29-line block ×12, first 2 shown]
v_lshlrev_b32 v4, 16, v96                          // convert bf16 to fp32
_v_mac_f32 v[vgprValuC+100], v4, s[sgprBeta]       // finalSum = sum*alpha + C*beta
v_and_b32 v4, v96, v7                              // convert bf16 to fp32
_v_mac_f32 v[vgprValuC+101], v4, s[sgprBeta]       // finalSum = sum*alpha + C*beta
v_lshlrev_b32 v4, 16, v97                          // convert bf16 to fp32
_v_mac_f32 v[vgprValuC+102], v4, s[sgprBeta]       // finalSum = sum*alpha + C*beta
v_and_b32 v4, v97, v7                              // convert bf16 to fp32
_v_mac_f32 v[vgprValuC+103], v4, s[sgprBeta]       // finalSum = sum*alpha + C*beta
v_cmp_u_f32 s[54:55], v[vgprValuC+100], v[vgprValuC+100] // check Nan
v_bfe_u32 v6, v[vgprValuC+100], 16, 1              // Non-Nan case: store lsb of bf16
v_add3_u32 v6, v[vgprValuC+100], v6, v9            // Non-Nan case: add lsb and the increment for rounding
v_cndmask_b32 v[vgprValuC+100], v6, v8, s[54:55]   // 
v_lshrrev_b32 v[vgprValuC+100], 16, v[vgprValuC+100] // convert C to bf16
v_cmp_u_f32 s[54:55], v[vgprValuC+101], v[vgprValuC+101] // check Nan
v_bfe_u32 v6, v[vgprValuC+101], 16, 1              // Non-Nan case: store lsb of bf16
v_add3_u32 v6, v[vgprValuC+101], v6, v9            // Non-Nan case: add lsb and the increment for rounding
v_cndmask_b32 v[vgprValuC+101], v6, v8, s[54:55]   // 
v_and_or_b32 v100, v[vgprValuC+101], v7, v[vgprValuC+100] // pack two bf16 to dword
v_cmp_u_f32 s[54:55], v[vgprValuC+102], v[vgprValuC+102] // check Nan
v_bfe_u32 v6, v[vgprValuC+102], 16, 1              // Non-Nan case: store lsb of bf16
v_add3_u32 v6, v[vgprValuC+102], v6, v9            // Non-Nan case: add lsb and the increment for rounding
v_cndmask_b32 v[vgprValuC+102], v6, v8, s[54:55]   // 
v_lshrrev_b32 v[vgprValuC+102], 16, v[vgprValuC+102] // convert C to bf16
v_cmp_u_f32 s[54:55], v[vgprValuC+103], v[vgprValuC+103] // check Nan
v_bfe_u32 v6, v[vgprValuC+103], 16, 1              // Non-Nan case: store lsb of bf16
v_add3_u32 v6, v[vgprValuC+103], v6, v9            // Non-Nan case: add lsb and the increment for rounding
v_cndmask_b32 v[vgprValuC+103], v6, v8, s[54:55]   // 
v_and_or_b32 v101, v[vgprValuC+103], v7, v[vgprValuC+102] // pack two bf16 to dword
_buffer_store_b64 v[100:101], v90, s[sgprSrdD:sgprSrdD+3], 0, offen, offset:0,  sc0 sc1 // store D
v_lshlrev_b32 v4, 16, v98                          // convert bf16 to fp32
_v_mac_f32 v[vgprValuC+104], v4, s[sgprBeta]       // finalSum = sum*alpha + C*beta
v_and_b32 v4, v98, v7                              // convert bf16 to fp32
_v_mac_f32 v[vgprValuC+105], v4, s[sgprBeta]       // finalSum = sum*alpha + C*beta
v_lshlrev_b32 v4, 16, v99                          // convert bf16 to fp32
_v_mac_f32 v[vgprValuC+106], v4, s[sgprBeta]       // finalSum = sum*alpha + C*beta
v_and_b32 v4, v99, v7                              // convert bf16 to fp32
_v_mac_f32 v[vgprValuC+107], v4, s[sgprBeta]       // finalSum = sum*alpha + C*beta
v_cmp_u_f32 s[54:55], v[vgprValuC+104], v[vgprValuC+104] // check Nan
v_bfe_u32 v6, v[vgprValuC+104], 16, 1              // Non-Nan case: store lsb of bf16
v_add3_u32 v6, v[vgprValuC+104], v6, v9            // Non-Nan case: add lsb and the increment for rounding
v_cndmask_b32 v[vgprValuC+104], v6, v8, s[54:55]   // 
v_lshrrev_b32 v[vgprValuC+104], 16, v[vgprValuC+104] // convert C to bf16
v_cmp_u_f32 s[54:55], v[vgprValuC+105], v[vgprValuC+105] // check Nan
v_bfe_u32 v6, v[vgprValuC+105], 16, 1              // Non-Nan case: store lsb of bf16
v_add3_u32 v6, v[vgprValuC+105], v6, v9            // Non-Nan case: add lsb and the increment for rounding
v_cndmask_b32 v[vgprValuC+105], v6, v8, s[54:55]   // 
v_and_or_b32 v104, v[vgprValuC+105], v7, v[vgprValuC+104] // pack two bf16 to dword
v_cmp_u_f32 s[54:55], v[vgprValuC+106], v[vgprValuC+106] // check Nan
v_bfe_u32 v6, v[vgprValuC+106], 16, 1              // Non-Nan case: store lsb of bf16
v_add3_u32 v6, v[vgprValuC+106], v6, v9            // Non-Nan case: add lsb and the increment for rounding
v_cndmask_b32 v[vgprValuC+106], v6, v8, s[54:55]   // 
v_lshrrev_b32 v[vgprValuC+106], 16, v[vgprValuC+106] // convert C to bf16
v_cmp_u_f32 s[54:55], v[vgprValuC+107], v[vgprValuC+107] // check Nan
v_bfe_u32 v6, v[vgprValuC+107], 16, 1              // Non-Nan case: store lsb of bf16
v_add3_u32 v6, v[vgprValuC+107], v6, v9            // Non-Nan case: add lsb and the increment for rounding
v_cndmask_b32 v[vgprValuC+107], v6, v8, s[54:55]   // 
v_and_or_b32 v105, v[vgprValuC+107], v7, v[vgprValuC+106] // pack two bf16 to dword
_buffer_store_b64 v[104:105], v91, s[sgprSrdD:sgprSrdD+3], 0, offen, offset:0,  sc0 sc1 // store D
v_lshlrev_b32 v4, 16, v110                         // convert bf16 to fp32
_v_mac_f32 v[vgprValuC+112], v4, s[sgprBeta]       // finalSum = sum*alpha + C*beta
v_and_b32 v4, v110, v7                             // convert bf16 to fp32
_v_mac_f32 v[vgprValuC+113], v4, s[sgprBeta]       // finalSum = sum*alpha + C*beta
v_lshlrev_b32 v4, 16, v111                         // convert bf16 to fp32
_v_mac_f32 v[vgprValuC+114], v4, s[sgprBeta]       // finalSum = sum*alpha + C*beta
v_and_b32 v4, v111, v7                             // convert bf16 to fp32
_v_mac_f32 v[vgprValuC+115], v4, s[sgprBeta]       // finalSum = sum*alpha + C*beta
v_cmp_u_f32 s[54:55], v[vgprValuC+112], v[vgprValuC+112] // check Nan
v_bfe_u32 v6, v[vgprValuC+112], 16, 1              // Non-Nan case: store lsb of bf16
v_add3_u32 v6, v[vgprValuC+112], v6, v9            // Non-Nan case: add lsb and the increment for rounding
v_cndmask_b32 v[vgprValuC+112], v6, v8, s[54:55]   // 
v_lshrrev_b32 v[vgprValuC+112], 16, v[vgprValuC+112] // convert C to bf16
v_cmp_u_f32 s[54:55], v[vgprValuC+113], v[vgprValuC+113] // check Nan
v_bfe_u32 v6, v[vgprValuC+113], 16, 1              // Non-Nan case: store lsb of bf16
v_add3_u32 v6, v[vgprValuC+113], v6, v9            // Non-Nan case: add lsb and the increment for rounding
v_cndmask_b32 v[vgprValuC+113], v6, v8, s[54:55]   // 
v_and_or_b32 v112, v[vgprValuC+113], v7, v[vgprValuC+112] // pack two bf16 to dword
v_cmp_u_f32 s[54:55], v[vgprValuC+114], v[vgprValuC+114] // check Nan
v_bfe_u32 v6, v[vgprValuC+114], 16, 1              // Non-Nan case: store lsb of bf16
v_add3_u32 v6, v[vgprValuC+114], v6, v9            // Non-Nan case: add lsb and the increment for rounding
v_cndmask_b32 v[vgprValuC+114], v6, v8, s[54:55]   // 
v_lshrrev_b32 v[vgprValuC+114], 16, v[vgprValuC+114] // convert C to bf16
v_cmp_u_f32 s[54:55], v[vgprValuC+115], v[vgprValuC+115] // check Nan
v_bfe_u32 v6, v[vgprValuC+115], 16, 1              // Non-Nan case: store lsb of bf16
v_add3_u32 v6, v[vgprValuC+115], v6, v9            // Non-Nan case: add lsb and the increment for rounding
v_cndmask_b32 v[vgprValuC+115], v6, v8, s[54:55]   // 
v_and_or_b32 v113, v[vgprValuC+115], v7, v[vgprValuC+114] // pack two bf16 to dword
_buffer_store_b64 v[112:113], v108, s[sgprSrdD:sgprSrdD+3], 0, offen, offset:0,  sc0 sc1 // store D
v_lshlrev_b32 v4, 16, v116                         // convert bf16 to fp32
_v_mac_f32 v[vgprValuC+120], v4, s[sgprBeta]       // finalSum = sum*alpha + C*beta
v_and_b32 v4, v116, v7                             // convert bf16 to fp32
_v_mac_f32 v[vgprValuC+121], v4, s[sgprBeta]       // finalSum = sum*alpha + C*beta
v_lshlrev_b32 v4, 16, v117                         // convert bf16 to fp32
_v_mac_f32 v[vgprValuC+122], v4, s[sgprBeta]       // finalSum = sum*alpha + C*beta
v_and_b32 v4, v117, v7                             // convert bf16 to fp32
	;; [unrolled: 29-line block ×10, first 2 shown]
_v_mac_f32 v[vgprValuC+179], v4, s[sgprBeta]       // finalSum = sum*alpha + C*beta
v_cmp_u_f32 s[54:55], v[vgprValuC+176], v[vgprValuC+176] // check Nan
v_bfe_u32 v6, v[vgprValuC+176], 16, 1              // Non-Nan case: store lsb of bf16
v_add3_u32 v6, v[vgprValuC+176], v6, v9            // Non-Nan case: add lsb and the increment for rounding
v_cndmask_b32 v[vgprValuC+176], v6, v8, s[54:55]   // 
v_lshrrev_b32 v[vgprValuC+176], 16, v[vgprValuC+176] // convert C to bf16
v_cmp_u_f32 s[54:55], v[vgprValuC+177], v[vgprValuC+177] // check Nan
v_bfe_u32 v6, v[vgprValuC+177], 16, 1              // Non-Nan case: store lsb of bf16
v_add3_u32 v6, v[vgprValuC+177], v6, v9            // Non-Nan case: add lsb and the increment for rounding
v_cndmask_b32 v[vgprValuC+177], v6, v8, s[54:55]   // 
v_and_or_b32 v176, v[vgprValuC+177], v7, v[vgprValuC+176] // pack two bf16 to dword
v_cmp_u_f32 s[54:55], v[vgprValuC+178], v[vgprValuC+178] // check Nan
v_bfe_u32 v6, v[vgprValuC+178], 16, 1              // Non-Nan case: store lsb of bf16
v_add3_u32 v6, v[vgprValuC+178], v6, v9            // Non-Nan case: add lsb and the increment for rounding
v_cndmask_b32 v[vgprValuC+178], v6, v8, s[54:55]   // 
v_lshrrev_b32 v[vgprValuC+178], 16, v[vgprValuC+178] // convert C to bf16
v_cmp_u_f32 s[54:55], v[vgprValuC+179], v[vgprValuC+179] // check Nan
v_bfe_u32 v6, v[vgprValuC+179], 16, 1              // Non-Nan case: store lsb of bf16
v_add3_u32 v6, v[vgprValuC+179], v6, v9            // Non-Nan case: add lsb and the increment for rounding
v_cndmask_b32 v[vgprValuC+179], v6, v8, s[54:55]   // 
v_and_or_b32 v177, v[vgprValuC+179], v7, v[vgprValuC+178] // pack two bf16 to dword
_buffer_store_b64 v[176:177], v165, s[sgprSrdD:sgprSrdD+3], 0, offen, offset:0,  sc0 sc1 // store D
s_nop 0                                            // 1 wait state required when next inst writes vgprs held by previous dwordx4 store inst
s_branch label_GW_End_42                           // jump to end
label_GW_End_42:

label_0047:  /// KernelEnd
s_endpgm                                           // Kernel End

